;; amdgpu-corpus repo=zjin-lcf/HeCBench kind=compiled arch=gfx90a opt=O3
	.text
	.amdgcn_target "amdgcn-amd-amdhsa--gfx90a"
	.amdhsa_code_object_version 6
	.protected	_Z11pnpoly_basePiPK15HIP_vector_typeIfLj2EES3_i ; -- Begin function _Z11pnpoly_basePiPK15HIP_vector_typeIfLj2EES3_i
	.globl	_Z11pnpoly_basePiPK15HIP_vector_typeIfLj2EES3_i
	.p2align	8
	.type	_Z11pnpoly_basePiPK15HIP_vector_typeIfLj2EES3_i,@function
_Z11pnpoly_basePiPK15HIP_vector_typeIfLj2EES3_i: ; @_Z11pnpoly_basePiPK15HIP_vector_typeIfLj2EES3_i
; %bb.0:
	s_load_dword s0, s[4:5], 0x2c
	s_load_dword s1, s[4:5], 0x18
	s_waitcnt lgkmcnt(0)
	s_and_b32 s0, s0, 0xffff
	s_mul_i32 s6, s6, s0
	v_add_u32_e32 v0, s6, v0
	v_cmp_gt_i32_e32 vcc, s1, v0
	s_and_saveexec_b64 s[0:1], vcc
	s_cbranch_execz .LBB0_16
; %bb.1:
	s_load_dwordx4 s[8:11], s[4:5], 0x0
	s_load_dwordx2 s[2:3], s[4:5], 0x10
	v_ashrrev_i32_e32 v1, 31, v0
	v_lshlrev_b64 v[2:3], 3, v[0:1]
	s_mov_b32 s5, 0
	s_waitcnt lgkmcnt(0)
	v_mov_b32_e32 v4, s11
	v_add_co_u32_e32 v2, vcc, s10, v2
	v_addc_co_u32_e32 v3, vcc, v4, v3, vcc
	global_load_dwordx2 v[2:3], v[2:3], off
	s_load_dword s12, s[2:3], 0x12bc
	s_movk_i32 s4, 0x257
	s_mov_b64 s[6:7], 0
	v_mov_b32_e32 v6, 0
	s_mov_b32 s15, s5
	s_waitcnt vmcnt(0)
	v_mov_b32_e32 v4, v3
	s_branch .LBB0_4
.LBB0_2:                                ;   in Loop: Header=BB0_4 Depth=1
	s_or_b64 exec, exec, s[10:11]
.LBB0_3:                                ;   in Loop: Header=BB0_4 Depth=1
	s_or_b64 exec, exec, s[0:1]
	s_add_i32 s4, s15, 2
	s_add_i32 s15, s15, 3
	s_add_u32 s6, s6, 24
	s_addc_u32 s7, s7, 0
	s_cmpk_eq_i32 s6, 0x12c0
	s_cbranch_scc1 .LBB0_15
.LBB0_4:                                ; =>This Inner Loop Header: Depth=1
	s_add_u32 s10, s2, s6
	s_addc_u32 s11, s3, s7
	s_load_dword s14, s[10:11], 0x4
	s_waitcnt lgkmcnt(0)
	v_cmp_ngt_f32_e64 s[0:1], s12, v3
	v_cmp_gt_f32_e32 vcc, s14, v3
	s_xor_b64 s[0:1], vcc, s[0:1]
	s_xor_b64 s[16:17], s[0:1], -1
	s_and_saveexec_b64 s[0:1], s[16:17]
	s_cbranch_execz .LBB0_8
; %bb.5:                                ;   in Loop: Header=BB0_4 Depth=1
	s_lshl_b64 s[16:17], s[4:5], 3
	s_add_u32 s16, s2, s16
	s_addc_u32 s17, s3, s17
	s_load_dword s4, s[10:11], 0x0
	s_load_dword s13, s[16:17], 0x0
	v_mov_b32_e32 v5, s12
	v_pk_add_f32 v[8:9], v[4:5], s[14:15] op_sel_hi:[1,0] neg_lo:[0,1] neg_hi:[0,1]
	s_waitcnt lgkmcnt(0)
	v_mov_b32_e32 v5, s4
	v_sub_f32_e32 v5, s13, v5
	v_div_scale_f32 v7, s[12:13], v9, v9, v5
	v_rcp_f32_e32 v10, v7
	v_div_scale_f32 v11, vcc, v5, v9, v5
	v_fma_f32 v12, -v7, v10, 1.0
	v_fmac_f32_e32 v10, v12, v10
	v_mul_f32_e32 v12, v11, v10
	v_fma_f32 v13, -v7, v12, v11
	v_fmac_f32_e32 v12, v13, v10
	v_fma_f32 v7, -v7, v12, v11
	v_div_fmas_f32 v7, v7, v10, v12
	v_div_fixup_f32 v5, v7, v9, v5
	v_fma_f32 v5, v8, v5, s4
	v_cmp_lt_f32_e32 vcc, v2, v5
	s_and_saveexec_b64 s[12:13], vcc
; %bb.6:                                ;   in Loop: Header=BB0_4 Depth=1
	v_cmp_eq_u32_e32 vcc, 0, v6
	v_cndmask_b32_e64 v6, 0, 1, vcc
; %bb.7:                                ;   in Loop: Header=BB0_4 Depth=1
	s_or_b64 exec, exec, s[12:13]
.LBB0_8:                                ;   in Loop: Header=BB0_4 Depth=1
	s_or_b64 exec, exec, s[0:1]
	s_load_dword s4, s[10:11], 0xc
	v_cmp_ngt_f32_e64 s[0:1], s14, v3
	s_waitcnt lgkmcnt(0)
	v_cmp_gt_f32_e32 vcc, s4, v3
	s_xor_b64 s[0:1], vcc, s[0:1]
	s_xor_b64 s[12:13], s[0:1], -1
	s_and_saveexec_b64 s[0:1], s[12:13]
	s_cbranch_execz .LBB0_12
; %bb.9:                                ;   in Loop: Header=BB0_4 Depth=1
	s_load_dword s16, s[10:11], 0x8
	s_load_dword s12, s[10:11], 0x0
	v_mov_b32_e32 v5, s14
	v_pk_add_f32 v[8:9], v[4:5], s[4:5] op_sel_hi:[1,0] neg_lo:[0,1] neg_hi:[0,1]
	s_waitcnt lgkmcnt(0)
	v_mov_b32_e32 v5, s16
	v_sub_f32_e32 v5, s12, v5
	v_div_scale_f32 v7, s[12:13], v9, v9, v5
	v_rcp_f32_e32 v10, v7
	v_div_scale_f32 v11, vcc, v5, v9, v5
	v_fma_f32 v12, -v7, v10, 1.0
	v_fmac_f32_e32 v10, v12, v10
	v_mul_f32_e32 v12, v11, v10
	v_fma_f32 v13, -v7, v12, v11
	v_fmac_f32_e32 v12, v13, v10
	v_fma_f32 v7, -v7, v12, v11
	v_div_fmas_f32 v7, v7, v10, v12
	v_div_fixup_f32 v5, v7, v9, v5
	v_fma_f32 v5, v8, v5, s16
	v_cmp_lt_f32_e32 vcc, v2, v5
	s_and_saveexec_b64 s[12:13], vcc
; %bb.10:                               ;   in Loop: Header=BB0_4 Depth=1
	v_cmp_eq_u32_e32 vcc, 0, v6
	v_cndmask_b32_e64 v6, 0, 1, vcc
; %bb.11:                               ;   in Loop: Header=BB0_4 Depth=1
	s_or_b64 exec, exec, s[12:13]
.LBB0_12:                               ;   in Loop: Header=BB0_4 Depth=1
	s_or_b64 exec, exec, s[0:1]
	s_load_dword s12, s[10:11], 0x14
	v_cmp_ngt_f32_e64 s[0:1], s4, v3
	s_waitcnt lgkmcnt(0)
	v_cmp_gt_f32_e32 vcc, s12, v3
	s_xor_b64 s[0:1], vcc, s[0:1]
	s_xor_b64 s[16:17], s[0:1], -1
	s_and_saveexec_b64 s[0:1], s[16:17]
	s_cbranch_execz .LBB0_3
; %bb.13:                               ;   in Loop: Header=BB0_4 Depth=1
	s_load_dword s13, s[10:11], 0x10
	s_load_dword s14, s[10:11], 0x8
	v_mov_b32_e32 v5, s4
	s_waitcnt lgkmcnt(0)
	v_pk_add_f32 v[8:9], v[4:5], s[12:13] op_sel_hi:[1,0] neg_lo:[0,1] neg_hi:[0,1]
	v_mov_b32_e32 v5, s13
	v_sub_f32_e32 v5, s14, v5
	v_div_scale_f32 v7, s[10:11], v9, v9, v5
	v_rcp_f32_e32 v10, v7
	v_div_scale_f32 v11, vcc, v5, v9, v5
	v_fma_f32 v12, -v7, v10, 1.0
	v_fmac_f32_e32 v10, v12, v10
	v_mul_f32_e32 v12, v11, v10
	v_fma_f32 v13, -v7, v12, v11
	v_fmac_f32_e32 v12, v13, v10
	v_fma_f32 v7, -v7, v12, v11
	v_div_fmas_f32 v7, v7, v10, v12
	v_div_fixup_f32 v5, v7, v9, v5
	v_fma_f32 v5, v8, v5, s13
	v_cmp_lt_f32_e32 vcc, v2, v5
	s_and_saveexec_b64 s[10:11], vcc
	s_cbranch_execz .LBB0_2
; %bb.14:                               ;   in Loop: Header=BB0_4 Depth=1
	v_cmp_eq_u32_e32 vcc, 0, v6
	v_cndmask_b32_e64 v6, 0, 1, vcc
	s_branch .LBB0_2
.LBB0_15:
	v_lshlrev_b64 v[0:1], 2, v[0:1]
	v_mov_b32_e32 v2, s9
	v_add_co_u32_e32 v0, vcc, s8, v0
	v_addc_co_u32_e32 v1, vcc, v2, v1, vcc
	global_store_dword v[0:1], v6, off
.LBB0_16:
	s_endpgm
	.section	.rodata,"a",@progbits
	.p2align	6, 0x0
	.amdhsa_kernel _Z11pnpoly_basePiPK15HIP_vector_typeIfLj2EES3_i
		.amdhsa_group_segment_fixed_size 0
		.amdhsa_private_segment_fixed_size 0
		.amdhsa_kernarg_size 288
		.amdhsa_user_sgpr_count 6
		.amdhsa_user_sgpr_private_segment_buffer 1
		.amdhsa_user_sgpr_dispatch_ptr 0
		.amdhsa_user_sgpr_queue_ptr 0
		.amdhsa_user_sgpr_kernarg_segment_ptr 1
		.amdhsa_user_sgpr_dispatch_id 0
		.amdhsa_user_sgpr_flat_scratch_init 0
		.amdhsa_user_sgpr_kernarg_preload_length 0
		.amdhsa_user_sgpr_kernarg_preload_offset 0
		.amdhsa_user_sgpr_private_segment_size 0
		.amdhsa_uses_dynamic_stack 0
		.amdhsa_system_sgpr_private_segment_wavefront_offset 0
		.amdhsa_system_sgpr_workgroup_id_x 1
		.amdhsa_system_sgpr_workgroup_id_y 0
		.amdhsa_system_sgpr_workgroup_id_z 0
		.amdhsa_system_sgpr_workgroup_info 0
		.amdhsa_system_vgpr_workitem_id 0
		.amdhsa_next_free_vgpr 14
		.amdhsa_next_free_sgpr 18
		.amdhsa_accum_offset 16
		.amdhsa_reserve_vcc 1
		.amdhsa_reserve_flat_scratch 0
		.amdhsa_float_round_mode_32 0
		.amdhsa_float_round_mode_16_64 0
		.amdhsa_float_denorm_mode_32 3
		.amdhsa_float_denorm_mode_16_64 3
		.amdhsa_dx10_clamp 1
		.amdhsa_ieee_mode 1
		.amdhsa_fp16_overflow 0
		.amdhsa_tg_split 0
		.amdhsa_exception_fp_ieee_invalid_op 0
		.amdhsa_exception_fp_denorm_src 0
		.amdhsa_exception_fp_ieee_div_zero 0
		.amdhsa_exception_fp_ieee_overflow 0
		.amdhsa_exception_fp_ieee_underflow 0
		.amdhsa_exception_fp_ieee_inexact 0
		.amdhsa_exception_int_div_zero 0
	.end_amdhsa_kernel
	.text
.Lfunc_end0:
	.size	_Z11pnpoly_basePiPK15HIP_vector_typeIfLj2EES3_i, .Lfunc_end0-_Z11pnpoly_basePiPK15HIP_vector_typeIfLj2EES3_i
                                        ; -- End function
	.section	.AMDGPU.csdata,"",@progbits
; Kernel info:
; codeLenInByte = 788
; NumSgprs: 22
; NumVgprs: 14
; NumAgprs: 0
; TotalNumVgprs: 14
; ScratchSize: 0
; MemoryBound: 0
; FloatMode: 240
; IeeeMode: 1
; LDSByteSize: 0 bytes/workgroup (compile time only)
; SGPRBlocks: 2
; VGPRBlocks: 1
; NumSGPRsForWavesPerEU: 22
; NumVGPRsForWavesPerEU: 14
; AccumOffset: 16
; Occupancy: 8
; WaveLimiterHint : 0
; COMPUTE_PGM_RSRC2:SCRATCH_EN: 0
; COMPUTE_PGM_RSRC2:USER_SGPR: 6
; COMPUTE_PGM_RSRC2:TRAP_HANDLER: 0
; COMPUTE_PGM_RSRC2:TGID_X_EN: 1
; COMPUTE_PGM_RSRC2:TGID_Y_EN: 0
; COMPUTE_PGM_RSRC2:TGID_Z_EN: 0
; COMPUTE_PGM_RSRC2:TIDIG_COMP_CNT: 0
; COMPUTE_PGM_RSRC3_GFX90A:ACCUM_OFFSET: 3
; COMPUTE_PGM_RSRC3_GFX90A:TG_SPLIT: 0
	.section	.text._Z10pnpoly_optILi1EEvPiPK15HIP_vector_typeIfLj2EES4_i,"axG",@progbits,_Z10pnpoly_optILi1EEvPiPK15HIP_vector_typeIfLj2EES4_i,comdat
	.protected	_Z10pnpoly_optILi1EEvPiPK15HIP_vector_typeIfLj2EES4_i ; -- Begin function _Z10pnpoly_optILi1EEvPiPK15HIP_vector_typeIfLj2EES4_i
	.globl	_Z10pnpoly_optILi1EEvPiPK15HIP_vector_typeIfLj2EES4_i
	.p2align	8
	.type	_Z10pnpoly_optILi1EEvPiPK15HIP_vector_typeIfLj2EES4_i,@function
_Z10pnpoly_optILi1EEvPiPK15HIP_vector_typeIfLj2EES4_i: ; @_Z10pnpoly_optILi1EEvPiPK15HIP_vector_typeIfLj2EES4_i
; %bb.0:
	s_load_dword s0, s[4:5], 0x18
	v_lshl_add_u32 v0, s6, 8, v0
	s_waitcnt lgkmcnt(0)
	v_cmp_gt_i32_e32 vcc, s0, v0
	s_and_saveexec_b64 s[0:1], vcc
	s_cbranch_execz .LBB1_16
; %bb.1:
	s_load_dwordx4 s[8:11], s[4:5], 0x0
	s_load_dwordx2 s[2:3], s[4:5], 0x10
	v_ashrrev_i32_e32 v1, 31, v0
	v_lshlrev_b64 v[2:3], 3, v[0:1]
	s_mov_b32 s5, 0
	s_waitcnt lgkmcnt(0)
	v_mov_b32_e32 v4, s11
	v_add_co_u32_e32 v2, vcc, s10, v2
	v_addc_co_u32_e32 v3, vcc, v4, v3, vcc
	global_load_dwordx2 v[2:3], v[2:3], off
	s_load_dword s12, s[2:3], 0x12bc
	s_movk_i32 s4, 0x257
	s_mov_b64 s[6:7], 0
	v_mov_b32_e32 v6, 0
	s_mov_b32 s15, s5
	s_waitcnt vmcnt(0)
	v_mov_b32_e32 v4, v3
	s_branch .LBB1_4
.LBB1_2:                                ;   in Loop: Header=BB1_4 Depth=1
	s_or_b64 exec, exec, s[10:11]
.LBB1_3:                                ;   in Loop: Header=BB1_4 Depth=1
	s_or_b64 exec, exec, s[0:1]
	s_add_i32 s4, s15, 2
	s_add_i32 s15, s15, 3
	s_add_u32 s6, s6, 24
	s_addc_u32 s7, s7, 0
	s_cmpk_lg_i32 s6, 0x12c0
	s_cbranch_scc0 .LBB1_15
.LBB1_4:                                ; =>This Inner Loop Header: Depth=1
	s_add_u32 s10, s2, s6
	s_addc_u32 s11, s3, s7
	s_load_dword s14, s[10:11], 0x4
	s_waitcnt lgkmcnt(0)
	v_cmp_ngt_f32_e64 s[0:1], s12, v3
	v_cmp_gt_f32_e32 vcc, s14, v3
	s_xor_b64 s[0:1], vcc, s[0:1]
	s_xor_b64 s[16:17], s[0:1], -1
	s_and_saveexec_b64 s[0:1], s[16:17]
	s_cbranch_execz .LBB1_8
; %bb.5:                                ;   in Loop: Header=BB1_4 Depth=1
	s_lshl_b64 s[16:17], s[4:5], 3
	s_add_u32 s16, s2, s16
	s_addc_u32 s17, s3, s17
	s_load_dword s4, s[10:11], 0x0
	s_load_dword s13, s[16:17], 0x0
	v_mov_b32_e32 v5, s12
	v_pk_add_f32 v[8:9], v[4:5], s[14:15] op_sel_hi:[1,0] neg_lo:[0,1] neg_hi:[0,1]
	s_waitcnt lgkmcnt(0)
	v_mov_b32_e32 v5, s4
	v_sub_f32_e32 v5, s13, v5
	v_div_scale_f32 v7, s[12:13], v9, v9, v5
	v_rcp_f32_e32 v10, v7
	v_div_scale_f32 v11, vcc, v5, v9, v5
	v_fma_f32 v12, -v7, v10, 1.0
	v_fmac_f32_e32 v10, v12, v10
	v_mul_f32_e32 v12, v11, v10
	v_fma_f32 v13, -v7, v12, v11
	v_fmac_f32_e32 v12, v13, v10
	v_fma_f32 v7, -v7, v12, v11
	v_div_fmas_f32 v7, v7, v10, v12
	v_div_fixup_f32 v5, v7, v9, v5
	v_fma_f32 v5, v8, v5, s4
	v_cmp_lt_f32_e32 vcc, v2, v5
	s_and_saveexec_b64 s[12:13], vcc
; %bb.6:                                ;   in Loop: Header=BB1_4 Depth=1
	v_cmp_eq_u32_e32 vcc, 0, v6
	v_cndmask_b32_e64 v6, 0, 1, vcc
; %bb.7:                                ;   in Loop: Header=BB1_4 Depth=1
	s_or_b64 exec, exec, s[12:13]
.LBB1_8:                                ;   in Loop: Header=BB1_4 Depth=1
	s_or_b64 exec, exec, s[0:1]
	s_load_dword s4, s[10:11], 0xc
	v_cmp_ngt_f32_e64 s[0:1], s14, v3
	s_waitcnt lgkmcnt(0)
	v_cmp_gt_f32_e32 vcc, s4, v3
	s_xor_b64 s[0:1], vcc, s[0:1]
	s_xor_b64 s[12:13], s[0:1], -1
	s_and_saveexec_b64 s[0:1], s[12:13]
	s_cbranch_execz .LBB1_12
; %bb.9:                                ;   in Loop: Header=BB1_4 Depth=1
	s_load_dword s16, s[10:11], 0x8
	s_load_dword s12, s[10:11], 0x0
	v_mov_b32_e32 v5, s14
	v_pk_add_f32 v[8:9], v[4:5], s[4:5] op_sel_hi:[1,0] neg_lo:[0,1] neg_hi:[0,1]
	s_waitcnt lgkmcnt(0)
	v_mov_b32_e32 v5, s16
	v_sub_f32_e32 v5, s12, v5
	v_div_scale_f32 v7, s[12:13], v9, v9, v5
	v_rcp_f32_e32 v10, v7
	v_div_scale_f32 v11, vcc, v5, v9, v5
	v_fma_f32 v12, -v7, v10, 1.0
	v_fmac_f32_e32 v10, v12, v10
	v_mul_f32_e32 v12, v11, v10
	v_fma_f32 v13, -v7, v12, v11
	v_fmac_f32_e32 v12, v13, v10
	v_fma_f32 v7, -v7, v12, v11
	v_div_fmas_f32 v7, v7, v10, v12
	v_div_fixup_f32 v5, v7, v9, v5
	v_fma_f32 v5, v8, v5, s16
	v_cmp_lt_f32_e32 vcc, v2, v5
	s_and_saveexec_b64 s[12:13], vcc
; %bb.10:                               ;   in Loop: Header=BB1_4 Depth=1
	v_cmp_eq_u32_e32 vcc, 0, v6
	v_cndmask_b32_e64 v6, 0, 1, vcc
; %bb.11:                               ;   in Loop: Header=BB1_4 Depth=1
	s_or_b64 exec, exec, s[12:13]
.LBB1_12:                               ;   in Loop: Header=BB1_4 Depth=1
	s_or_b64 exec, exec, s[0:1]
	s_load_dword s12, s[10:11], 0x14
	v_cmp_ngt_f32_e64 s[0:1], s4, v3
	s_waitcnt lgkmcnt(0)
	v_cmp_gt_f32_e32 vcc, s12, v3
	s_xor_b64 s[0:1], vcc, s[0:1]
	s_xor_b64 s[16:17], s[0:1], -1
	s_and_saveexec_b64 s[0:1], s[16:17]
	s_cbranch_execz .LBB1_3
; %bb.13:                               ;   in Loop: Header=BB1_4 Depth=1
	s_load_dword s13, s[10:11], 0x10
	s_load_dword s14, s[10:11], 0x8
	v_mov_b32_e32 v5, s4
	s_waitcnt lgkmcnt(0)
	v_pk_add_f32 v[8:9], v[4:5], s[12:13] op_sel_hi:[1,0] neg_lo:[0,1] neg_hi:[0,1]
	v_mov_b32_e32 v5, s13
	v_sub_f32_e32 v5, s14, v5
	v_div_scale_f32 v7, s[10:11], v9, v9, v5
	v_rcp_f32_e32 v10, v7
	v_div_scale_f32 v11, vcc, v5, v9, v5
	v_fma_f32 v12, -v7, v10, 1.0
	v_fmac_f32_e32 v10, v12, v10
	v_mul_f32_e32 v12, v11, v10
	v_fma_f32 v13, -v7, v12, v11
	v_fmac_f32_e32 v12, v13, v10
	v_fma_f32 v7, -v7, v12, v11
	v_div_fmas_f32 v7, v7, v10, v12
	v_div_fixup_f32 v5, v7, v9, v5
	v_fma_f32 v5, v8, v5, s13
	v_cmp_lt_f32_e32 vcc, v2, v5
	s_and_saveexec_b64 s[10:11], vcc
	s_cbranch_execz .LBB1_2
; %bb.14:                               ;   in Loop: Header=BB1_4 Depth=1
	v_cmp_eq_u32_e32 vcc, 0, v6
	v_cndmask_b32_e64 v6, 0, 1, vcc
	s_branch .LBB1_2
.LBB1_15:
	v_lshlrev_b64 v[0:1], 2, v[0:1]
	v_mov_b32_e32 v2, s9
	v_add_co_u32_e32 v0, vcc, s8, v0
	v_addc_co_u32_e32 v1, vcc, v2, v1, vcc
	global_store_dword v[0:1], v6, off
.LBB1_16:
	s_endpgm
	.section	.rodata,"a",@progbits
	.p2align	6, 0x0
	.amdhsa_kernel _Z10pnpoly_optILi1EEvPiPK15HIP_vector_typeIfLj2EES4_i
		.amdhsa_group_segment_fixed_size 0
		.amdhsa_private_segment_fixed_size 0
		.amdhsa_kernarg_size 28
		.amdhsa_user_sgpr_count 6
		.amdhsa_user_sgpr_private_segment_buffer 1
		.amdhsa_user_sgpr_dispatch_ptr 0
		.amdhsa_user_sgpr_queue_ptr 0
		.amdhsa_user_sgpr_kernarg_segment_ptr 1
		.amdhsa_user_sgpr_dispatch_id 0
		.amdhsa_user_sgpr_flat_scratch_init 0
		.amdhsa_user_sgpr_kernarg_preload_length 0
		.amdhsa_user_sgpr_kernarg_preload_offset 0
		.amdhsa_user_sgpr_private_segment_size 0
		.amdhsa_uses_dynamic_stack 0
		.amdhsa_system_sgpr_private_segment_wavefront_offset 0
		.amdhsa_system_sgpr_workgroup_id_x 1
		.amdhsa_system_sgpr_workgroup_id_y 0
		.amdhsa_system_sgpr_workgroup_id_z 0
		.amdhsa_system_sgpr_workgroup_info 0
		.amdhsa_system_vgpr_workitem_id 0
		.amdhsa_next_free_vgpr 14
		.amdhsa_next_free_sgpr 18
		.amdhsa_accum_offset 16
		.amdhsa_reserve_vcc 1
		.amdhsa_reserve_flat_scratch 0
		.amdhsa_float_round_mode_32 0
		.amdhsa_float_round_mode_16_64 0
		.amdhsa_float_denorm_mode_32 3
		.amdhsa_float_denorm_mode_16_64 3
		.amdhsa_dx10_clamp 1
		.amdhsa_ieee_mode 1
		.amdhsa_fp16_overflow 0
		.amdhsa_tg_split 0
		.amdhsa_exception_fp_ieee_invalid_op 0
		.amdhsa_exception_fp_denorm_src 0
		.amdhsa_exception_fp_ieee_div_zero 0
		.amdhsa_exception_fp_ieee_overflow 0
		.amdhsa_exception_fp_ieee_underflow 0
		.amdhsa_exception_fp_ieee_inexact 0
		.amdhsa_exception_int_div_zero 0
	.end_amdhsa_kernel
	.section	.text._Z10pnpoly_optILi1EEvPiPK15HIP_vector_typeIfLj2EES4_i,"axG",@progbits,_Z10pnpoly_optILi1EEvPiPK15HIP_vector_typeIfLj2EES4_i,comdat
.Lfunc_end1:
	.size	_Z10pnpoly_optILi1EEvPiPK15HIP_vector_typeIfLj2EES4_i, .Lfunc_end1-_Z10pnpoly_optILi1EEvPiPK15HIP_vector_typeIfLj2EES4_i
                                        ; -- End function
	.section	.AMDGPU.csdata,"",@progbits
; Kernel info:
; codeLenInByte = 772
; NumSgprs: 22
; NumVgprs: 14
; NumAgprs: 0
; TotalNumVgprs: 14
; ScratchSize: 0
; MemoryBound: 0
; FloatMode: 240
; IeeeMode: 1
; LDSByteSize: 0 bytes/workgroup (compile time only)
; SGPRBlocks: 2
; VGPRBlocks: 1
; NumSGPRsForWavesPerEU: 22
; NumVGPRsForWavesPerEU: 14
; AccumOffset: 16
; Occupancy: 8
; WaveLimiterHint : 0
; COMPUTE_PGM_RSRC2:SCRATCH_EN: 0
; COMPUTE_PGM_RSRC2:USER_SGPR: 6
; COMPUTE_PGM_RSRC2:TRAP_HANDLER: 0
; COMPUTE_PGM_RSRC2:TGID_X_EN: 1
; COMPUTE_PGM_RSRC2:TGID_Y_EN: 0
; COMPUTE_PGM_RSRC2:TGID_Z_EN: 0
; COMPUTE_PGM_RSRC2:TIDIG_COMP_CNT: 0
; COMPUTE_PGM_RSRC3_GFX90A:ACCUM_OFFSET: 3
; COMPUTE_PGM_RSRC3_GFX90A:TG_SPLIT: 0
	.section	.text._Z10pnpoly_optILi2EEvPiPK15HIP_vector_typeIfLj2EES4_i,"axG",@progbits,_Z10pnpoly_optILi2EEvPiPK15HIP_vector_typeIfLj2EES4_i,comdat
	.protected	_Z10pnpoly_optILi2EEvPiPK15HIP_vector_typeIfLj2EES4_i ; -- Begin function _Z10pnpoly_optILi2EEvPiPK15HIP_vector_typeIfLj2EES4_i
	.globl	_Z10pnpoly_optILi2EEvPiPK15HIP_vector_typeIfLj2EES4_i
	.p2align	8
	.type	_Z10pnpoly_optILi2EEvPiPK15HIP_vector_typeIfLj2EES4_i,@function
_Z10pnpoly_optILi2EEvPiPK15HIP_vector_typeIfLj2EES4_i: ; @_Z10pnpoly_optILi2EEvPiPK15HIP_vector_typeIfLj2EES4_i
; %bb.0:
	s_load_dword s0, s[4:5], 0x18
	v_lshl_add_u32 v0, s6, 9, v0
	s_waitcnt lgkmcnt(0)
	v_cmp_gt_i32_e32 vcc, s0, v0
	s_and_saveexec_b64 s[2:3], vcc
	s_cbranch_execz .LBB2_15
; %bb.1:
	s_load_dwordx4 s[8:11], s[4:5], 0x0
	s_load_dwordx2 s[6:7], s[4:5], 0x10
	v_ashrrev_i32_e32 v1, 31, v0
	v_lshlrev_b64 v[2:3], 3, v[0:1]
	s_waitcnt lgkmcnt(0)
	v_mov_b32_e32 v4, s11
	v_add_co_u32_e32 v6, vcc, s10, v2
	v_addc_co_u32_e32 v7, vcc, v4, v3, vcc
	global_load_dwordx2 v[2:3], v[6:7], off
	v_add_u32_e32 v4, 0x100, v0
	v_cmp_gt_i32_e64 s[0:1], s0, v4
                                        ; implicit-def: $vgpr4
	s_and_saveexec_b64 s[2:3], s[0:1]
	s_cbranch_execz .LBB2_3
; %bb.2:
	global_load_dwordx2 v[4:5], v[6:7], off offset:2048
.LBB2_3:
	s_or_b64 exec, exec, s[2:3]
	s_load_dwordx2 s[10:11], s[6:7], 0x12b8
	s_mov_b32 s2, 0
	s_mov_b32 s3, s2
	s_mov_b64 s[4:5], 0
	v_pk_mov_b32 v[6:7], s[2:3], s[2:3] op_sel:[0,1]
	s_branch .LBB2_6
.LBB2_4:                                ;   in Loop: Header=BB2_6 Depth=1
	s_or_b64 exec, exec, s[14:15]
.LBB2_5:                                ;   in Loop: Header=BB2_6 Depth=1
	s_or_b64 exec, exec, s[2:3]
	v_cmp_gt_f32_e32 vcc, s11, v5
	v_cmp_ngt_f32_e64 s[2:3], s13, v5
	v_subrev_f32_e32 v9, s11, v5
	s_xor_b64 s[2:3], vcc, s[2:3]
	v_fma_f32 v8, v8, v9, s10
	s_xor_b64 s[12:13], s[2:3], -1
	v_cmp_lt_f32_e32 vcc, v4, v8
	s_and_b64 vcc, s[12:13], vcc
	v_cmp_eq_u32_e64 s[2:3], 0, v7
	s_add_u32 s4, s4, 16
	v_cndmask_b32_e64 v8, 0, 1, s[2:3]
	s_addc_u32 s5, s5, 0
	s_cmpk_lg_i32 s4, 0x12c0
	v_cndmask_b32_e32 v7, v7, v8, vcc
	s_cbranch_scc0 .LBB2_13
.LBB2_6:                                ; =>This Inner Loop Header: Depth=1
	s_add_u32 s14, s6, s4
	s_addc_u32 s15, s7, s5
	s_load_dwordx2 s[12:13], s[14:15], 0x0
	s_waitcnt vmcnt(0) lgkmcnt(0)
	v_cmp_ngt_f32_e32 vcc, s11, v3
	v_pk_mov_b32 v[8:9], s[12:13], s[12:13] op_sel:[0,1]
	v_pk_add_f32 v[8:9], s[10:11], v[8:9] neg_lo:[0,1] neg_hi:[0,1]
	v_div_scale_f32 v10, s[16:17], v9, v9, v8
	v_rcp_f32_e32 v11, v10
	v_cmp_gt_f32_e64 s[2:3], s13, v3
	s_xor_b64 s[2:3], s[2:3], vcc
	v_div_scale_f32 v12, vcc, v8, v9, v8
	v_fma_f32 v13, -v10, v11, 1.0
	v_fmac_f32_e32 v11, v13, v11
	v_mul_f32_e32 v13, v12, v11
	v_fma_f32 v14, -v10, v13, v12
	v_fmac_f32_e32 v13, v14, v11
	v_fma_f32 v10, -v10, v13, v12
	v_div_fmas_f32 v10, v10, v11, v13
	v_div_fixup_f32 v8, v10, v9, v8
	s_xor_b64 s[16:17], s[2:3], -1
	s_and_saveexec_b64 s[2:3], s[16:17]
	s_cbranch_execz .LBB2_10
; %bb.7:                                ;   in Loop: Header=BB2_6 Depth=1
	v_subrev_f32_e32 v9, s13, v3
	v_fma_f32 v9, v8, v9, s12
	v_cmp_lt_f32_e32 vcc, v2, v9
	s_and_saveexec_b64 s[16:17], vcc
; %bb.8:                                ;   in Loop: Header=BB2_6 Depth=1
	v_cmp_eq_u32_e32 vcc, 0, v6
	v_cndmask_b32_e64 v6, 0, 1, vcc
; %bb.9:                                ;   in Loop: Header=BB2_6 Depth=1
	s_or_b64 exec, exec, s[16:17]
.LBB2_10:                               ;   in Loop: Header=BB2_6 Depth=1
	s_or_b64 exec, exec, s[2:3]
	v_cmp_ngt_f32_e64 s[2:3], s11, v5
	s_load_dwordx2 s[10:11], s[14:15], 0x8
	v_subrev_f32_e32 v9, s13, v5
	v_cmp_gt_f32_e32 vcc, s13, v5
	v_fma_f32 v8, v8, v9, s12
	s_xor_b64 s[2:3], vcc, s[2:3]
	v_cmp_lt_f32_e32 vcc, v4, v8
	s_waitcnt lgkmcnt(0)
	v_pk_mov_b32 v[8:9], s[10:11], s[10:11] op_sel:[0,1]
	v_pk_add_f32 v[8:9], s[12:13], v[8:9] neg_lo:[0,1] neg_hi:[0,1]
	s_xor_b64 s[14:15], s[2:3], -1
	v_div_scale_f32 v10, s[2:3], v9, v9, v8
	v_rcp_f32_e32 v11, v10
	v_cmp_eq_u32_e64 s[2:3], 0, v7
	v_cndmask_b32_e64 v12, 0, 1, s[2:3]
	s_and_b64 vcc, s[14:15], vcc
	v_cndmask_b32_e32 v7, v7, v12, vcc
	v_fma_f32 v12, -v10, v11, 1.0
	v_fmac_f32_e32 v11, v12, v11
	v_div_scale_f32 v12, vcc, v8, v9, v8
	v_mul_f32_e32 v13, v12, v11
	v_fma_f32 v14, -v10, v13, v12
	v_fmac_f32_e32 v13, v14, v11
	v_fma_f32 v10, -v10, v13, v12
	v_div_fmas_f32 v10, v10, v11, v13
	v_cmp_gt_f32_e32 vcc, s11, v3
	v_cmp_ngt_f32_e64 s[2:3], s13, v3
	s_xor_b64 s[2:3], vcc, s[2:3]
	v_div_fixup_f32 v8, v10, v9, v8
	s_xor_b64 s[14:15], s[2:3], -1
	s_and_saveexec_b64 s[2:3], s[14:15]
	s_cbranch_execz .LBB2_5
; %bb.11:                               ;   in Loop: Header=BB2_6 Depth=1
	v_subrev_f32_e32 v9, s11, v3
	v_fma_f32 v9, v8, v9, s10
	v_cmp_lt_f32_e32 vcc, v2, v9
	s_and_saveexec_b64 s[14:15], vcc
	s_cbranch_execz .LBB2_4
; %bb.12:                               ;   in Loop: Header=BB2_6 Depth=1
	v_cmp_eq_u32_e32 vcc, 0, v6
	v_cndmask_b32_e64 v6, 0, 1, vcc
	s_branch .LBB2_4
.LBB2_13:
	v_lshlrev_b64 v[0:1], 2, v[0:1]
	v_mov_b32_e32 v2, s9
	v_add_co_u32_e32 v0, vcc, s8, v0
	v_addc_co_u32_e32 v1, vcc, v2, v1, vcc
	global_store_dword v[0:1], v6, off
	s_and_b64 exec, exec, s[0:1]
	s_cbranch_execz .LBB2_15
; %bb.14:
	global_store_dword v[0:1], v7, off offset:1024
.LBB2_15:
	s_endpgm
	.section	.rodata,"a",@progbits
	.p2align	6, 0x0
	.amdhsa_kernel _Z10pnpoly_optILi2EEvPiPK15HIP_vector_typeIfLj2EES4_i
		.amdhsa_group_segment_fixed_size 0
		.amdhsa_private_segment_fixed_size 0
		.amdhsa_kernarg_size 28
		.amdhsa_user_sgpr_count 6
		.amdhsa_user_sgpr_private_segment_buffer 1
		.amdhsa_user_sgpr_dispatch_ptr 0
		.amdhsa_user_sgpr_queue_ptr 0
		.amdhsa_user_sgpr_kernarg_segment_ptr 1
		.amdhsa_user_sgpr_dispatch_id 0
		.amdhsa_user_sgpr_flat_scratch_init 0
		.amdhsa_user_sgpr_kernarg_preload_length 0
		.amdhsa_user_sgpr_kernarg_preload_offset 0
		.amdhsa_user_sgpr_private_segment_size 0
		.amdhsa_uses_dynamic_stack 0
		.amdhsa_system_sgpr_private_segment_wavefront_offset 0
		.amdhsa_system_sgpr_workgroup_id_x 1
		.amdhsa_system_sgpr_workgroup_id_y 0
		.amdhsa_system_sgpr_workgroup_id_z 0
		.amdhsa_system_sgpr_workgroup_info 0
		.amdhsa_system_vgpr_workitem_id 0
		.amdhsa_next_free_vgpr 15
		.amdhsa_next_free_sgpr 18
		.amdhsa_accum_offset 16
		.amdhsa_reserve_vcc 1
		.amdhsa_reserve_flat_scratch 0
		.amdhsa_float_round_mode_32 0
		.amdhsa_float_round_mode_16_64 0
		.amdhsa_float_denorm_mode_32 3
		.amdhsa_float_denorm_mode_16_64 3
		.amdhsa_dx10_clamp 1
		.amdhsa_ieee_mode 1
		.amdhsa_fp16_overflow 0
		.amdhsa_tg_split 0
		.amdhsa_exception_fp_ieee_invalid_op 0
		.amdhsa_exception_fp_denorm_src 0
		.amdhsa_exception_fp_ieee_div_zero 0
		.amdhsa_exception_fp_ieee_overflow 0
		.amdhsa_exception_fp_ieee_underflow 0
		.amdhsa_exception_fp_ieee_inexact 0
		.amdhsa_exception_int_div_zero 0
	.end_amdhsa_kernel
	.section	.text._Z10pnpoly_optILi2EEvPiPK15HIP_vector_typeIfLj2EES4_i,"axG",@progbits,_Z10pnpoly_optILi2EEvPiPK15HIP_vector_typeIfLj2EES4_i,comdat
.Lfunc_end2:
	.size	_Z10pnpoly_optILi2EEvPiPK15HIP_vector_typeIfLj2EES4_i, .Lfunc_end2-_Z10pnpoly_optILi2EEvPiPK15HIP_vector_typeIfLj2EES4_i
                                        ; -- End function
	.section	.AMDGPU.csdata,"",@progbits
; Kernel info:
; codeLenInByte = 688
; NumSgprs: 22
; NumVgprs: 15
; NumAgprs: 0
; TotalNumVgprs: 15
; ScratchSize: 0
; MemoryBound: 0
; FloatMode: 240
; IeeeMode: 1
; LDSByteSize: 0 bytes/workgroup (compile time only)
; SGPRBlocks: 2
; VGPRBlocks: 1
; NumSGPRsForWavesPerEU: 22
; NumVGPRsForWavesPerEU: 15
; AccumOffset: 16
; Occupancy: 8
; WaveLimiterHint : 0
; COMPUTE_PGM_RSRC2:SCRATCH_EN: 0
; COMPUTE_PGM_RSRC2:USER_SGPR: 6
; COMPUTE_PGM_RSRC2:TRAP_HANDLER: 0
; COMPUTE_PGM_RSRC2:TGID_X_EN: 1
; COMPUTE_PGM_RSRC2:TGID_Y_EN: 0
; COMPUTE_PGM_RSRC2:TGID_Z_EN: 0
; COMPUTE_PGM_RSRC2:TIDIG_COMP_CNT: 0
; COMPUTE_PGM_RSRC3_GFX90A:ACCUM_OFFSET: 3
; COMPUTE_PGM_RSRC3_GFX90A:TG_SPLIT: 0
	.section	.text._Z10pnpoly_optILi4EEvPiPK15HIP_vector_typeIfLj2EES4_i,"axG",@progbits,_Z10pnpoly_optILi4EEvPiPK15HIP_vector_typeIfLj2EES4_i,comdat
	.protected	_Z10pnpoly_optILi4EEvPiPK15HIP_vector_typeIfLj2EES4_i ; -- Begin function _Z10pnpoly_optILi4EEvPiPK15HIP_vector_typeIfLj2EES4_i
	.globl	_Z10pnpoly_optILi4EEvPiPK15HIP_vector_typeIfLj2EES4_i
	.p2align	8
	.type	_Z10pnpoly_optILi4EEvPiPK15HIP_vector_typeIfLj2EES4_i,@function
_Z10pnpoly_optILi4EEvPiPK15HIP_vector_typeIfLj2EES4_i: ; @_Z10pnpoly_optILi4EEvPiPK15HIP_vector_typeIfLj2EES4_i
; %bb.0:
	s_load_dword s12, s[4:5], 0x18
	v_lshl_or_b32 v4, s6, 10, v0
	s_waitcnt lgkmcnt(0)
	v_cmp_gt_i32_e32 vcc, s12, v4
	s_and_saveexec_b64 s[0:1], vcc
	s_cbranch_execz .LBB3_17
; %bb.1:
	s_load_dwordx2 s[0:1], s[4:5], 0x8
	v_ashrrev_i32_e32 v5, 31, v4
	v_lshlrev_b64 v[0:1], 3, v[4:5]
                                        ; implicit-def: $vgpr8
	s_waitcnt lgkmcnt(0)
	v_mov_b32_e32 v2, s1
	v_add_co_u32_e32 v0, vcc, s0, v0
	v_addc_co_u32_e32 v1, vcc, v2, v1, vcc
	global_load_dwordx2 v[6:7], v[0:1], off
	v_add_u32_e32 v2, 0x100, v4
	v_cmp_gt_i32_e64 s[0:1], s12, v2
	s_and_saveexec_b64 s[2:3], s[0:1]
	s_cbranch_execz .LBB3_3
; %bb.2:
	global_load_dwordx2 v[8:9], v[0:1], off offset:2048
.LBB3_3:
	s_or_b64 exec, exec, s[2:3]
	s_load_dwordx2 s[8:9], s[4:5], 0x10
	v_add_u32_e32 v2, 0x200, v4
	v_cmp_gt_i32_e64 s[2:3], s12, v2
                                        ; implicit-def: $vgpr10
	s_and_saveexec_b64 s[6:7], s[2:3]
	s_cbranch_execz .LBB3_5
; %bb.4:
	v_add_co_u32_e32 v2, vcc, 0x1000, v0
	v_addc_co_u32_e32 v3, vcc, 0, v1, vcc
	global_load_dwordx2 v[10:11], v[2:3], off
.LBB3_5:
	s_or_b64 exec, exec, s[6:7]
	s_load_dwordx2 s[10:11], s[4:5], 0x0
	v_add_u32_e32 v2, 0x300, v4
	v_cmp_gt_i32_e64 s[4:5], s12, v2
                                        ; implicit-def: $vgpr12
	s_and_saveexec_b64 s[6:7], s[4:5]
	s_cbranch_execz .LBB3_7
; %bb.6:
	v_add_co_u32_e32 v0, vcc, 0x1000, v0
	v_addc_co_u32_e32 v1, vcc, 0, v1, vcc
	global_load_dwordx2 v[12:13], v[0:1], off offset:2048
.LBB3_7:
	s_or_b64 exec, exec, s[6:7]
	s_waitcnt lgkmcnt(0)
	s_load_dwordx2 s[16:17], s[8:9], 0x12b8
	s_mov_b32 s20, 0
	s_mov_b32 s21, s20
	;; [unrolled: 1-line block ×4, first 2 shown]
	v_pk_mov_b32 v[0:1], s[20:21], s[20:21] op_sel:[0,1]
	s_mov_b64 s[12:13], 0
	v_pk_mov_b32 v[2:3], s[22:23], s[22:23] op_sel:[0,1]
	s_branch .LBB3_10
.LBB3_8:                                ;   in Loop: Header=BB3_10 Depth=1
	s_or_b64 exec, exec, s[18:19]
.LBB3_9:                                ;   in Loop: Header=BB3_10 Depth=1
	s_or_b64 exec, exec, s[6:7]
	v_cmp_gt_f32_e32 vcc, s15, v9
	v_cmp_ngt_f32_e64 s[6:7], s17, v9
	v_subrev_f32_e32 v15, s15, v9
	s_xor_b64 s[6:7], vcc, s[6:7]
	v_fma_f32 v15, v14, v15, s14
	s_xor_b64 s[18:19], s[6:7], -1
	v_cmp_lt_f32_e32 vcc, v8, v15
	v_cmp_eq_u32_e64 s[6:7], 0, v1
	v_cndmask_b32_e64 v15, 0, 1, s[6:7]
	s_and_b64 vcc, s[18:19], vcc
	v_cndmask_b32_e32 v1, v1, v15, vcc
	v_cmp_gt_f32_e32 vcc, s15, v11
	v_cmp_ngt_f32_e64 s[6:7], s17, v11
	v_subrev_f32_e32 v15, s15, v11
	s_xor_b64 s[6:7], vcc, s[6:7]
	v_fma_f32 v15, v14, v15, s14
	s_xor_b64 s[18:19], s[6:7], -1
	v_cmp_lt_f32_e32 vcc, v10, v15
	v_cmp_eq_u32_e64 s[6:7], 0, v2
	v_cndmask_b32_e64 v15, 0, 1, s[6:7]
	s_and_b64 vcc, s[18:19], vcc
	v_cndmask_b32_e32 v2, v2, v15, vcc
	v_cmp_gt_f32_e32 vcc, s15, v13
	v_cmp_ngt_f32_e64 s[6:7], s17, v13
	v_subrev_f32_e32 v15, s15, v13
	s_xor_b64 s[6:7], vcc, s[6:7]
	v_fma_f32 v14, v14, v15, s14
	s_xor_b64 s[16:17], s[6:7], -1
	v_cmp_lt_f32_e32 vcc, v12, v14
	s_and_b64 vcc, s[16:17], vcc
	v_cmp_eq_u32_e64 s[6:7], 0, v3
	s_add_u32 s12, s12, 8
	v_cndmask_b32_e64 v14, 0, 1, s[6:7]
	s_addc_u32 s13, s13, 0
	v_cndmask_b32_e32 v3, v3, v14, vcc
	s_cmpk_lg_i32 s12, 0x12c0
	s_mov_b64 s[16:17], s[14:15]
	s_cbranch_scc0 .LBB3_13
.LBB3_10:                               ; =>This Inner Loop Header: Depth=1
	s_add_u32 s6, s8, s12
	s_addc_u32 s7, s9, s13
	s_load_dwordx2 s[14:15], s[6:7], 0x0
	s_waitcnt vmcnt(0) lgkmcnt(0)
	v_cmp_ngt_f32_e32 vcc, s17, v7
	v_pk_mov_b32 v[14:15], s[14:15], s[14:15] op_sel:[0,1]
	v_pk_add_f32 v[14:15], s[16:17], v[14:15] neg_lo:[0,1] neg_hi:[0,1]
	v_div_scale_f32 v16, s[18:19], v15, v15, v14
	v_rcp_f32_e32 v17, v16
	v_cmp_gt_f32_e64 s[6:7], s15, v7
	s_xor_b64 s[6:7], s[6:7], vcc
	v_div_scale_f32 v18, vcc, v14, v15, v14
	v_fma_f32 v19, -v16, v17, 1.0
	v_fmac_f32_e32 v17, v19, v17
	v_mul_f32_e32 v19, v18, v17
	v_fma_f32 v20, -v16, v19, v18
	v_fmac_f32_e32 v19, v20, v17
	v_fma_f32 v16, -v16, v19, v18
	v_div_fmas_f32 v16, v16, v17, v19
	v_div_fixup_f32 v14, v16, v15, v14
	s_xor_b64 s[18:19], s[6:7], -1
	s_and_saveexec_b64 s[6:7], s[18:19]
	s_cbranch_execz .LBB3_9
; %bb.11:                               ;   in Loop: Header=BB3_10 Depth=1
	v_subrev_f32_e32 v15, s15, v7
	v_fma_f32 v15, v14, v15, s14
	v_cmp_lt_f32_e32 vcc, v6, v15
	s_and_saveexec_b64 s[18:19], vcc
	s_cbranch_execz .LBB3_8
; %bb.12:                               ;   in Loop: Header=BB3_10 Depth=1
	v_cmp_eq_u32_e32 vcc, 0, v0
	v_cndmask_b32_e64 v0, 0, 1, vcc
	s_branch .LBB3_8
.LBB3_13:
	v_lshlrev_b64 v[4:5], 2, v[4:5]
	v_mov_b32_e32 v6, s11
	v_add_co_u32_e32 v4, vcc, s10, v4
	v_addc_co_u32_e32 v5, vcc, v6, v5, vcc
	global_store_dword v[4:5], v0, off
	s_and_saveexec_b64 s[6:7], s[0:1]
	s_cbranch_execnz .LBB3_18
; %bb.14:
	s_or_b64 exec, exec, s[6:7]
	s_and_saveexec_b64 s[0:1], s[2:3]
	s_cbranch_execnz .LBB3_19
.LBB3_15:
	s_or_b64 exec, exec, s[0:1]
	s_and_b64 exec, exec, s[4:5]
	s_cbranch_execz .LBB3_17
.LBB3_16:
	global_store_dword v[4:5], v3, off offset:3072
.LBB3_17:
	s_endpgm
.LBB3_18:
	global_store_dword v[4:5], v1, off offset:1024
	s_or_b64 exec, exec, s[6:7]
	s_and_saveexec_b64 s[0:1], s[2:3]
	s_cbranch_execz .LBB3_15
.LBB3_19:
	global_store_dword v[4:5], v2, off offset:2048
	s_or_b64 exec, exec, s[0:1]
	s_and_b64 exec, exec, s[4:5]
	s_cbranch_execnz .LBB3_16
	s_branch .LBB3_17
	.section	.rodata,"a",@progbits
	.p2align	6, 0x0
	.amdhsa_kernel _Z10pnpoly_optILi4EEvPiPK15HIP_vector_typeIfLj2EES4_i
		.amdhsa_group_segment_fixed_size 0
		.amdhsa_private_segment_fixed_size 0
		.amdhsa_kernarg_size 28
		.amdhsa_user_sgpr_count 6
		.amdhsa_user_sgpr_private_segment_buffer 1
		.amdhsa_user_sgpr_dispatch_ptr 0
		.amdhsa_user_sgpr_queue_ptr 0
		.amdhsa_user_sgpr_kernarg_segment_ptr 1
		.amdhsa_user_sgpr_dispatch_id 0
		.amdhsa_user_sgpr_flat_scratch_init 0
		.amdhsa_user_sgpr_kernarg_preload_length 0
		.amdhsa_user_sgpr_kernarg_preload_offset 0
		.amdhsa_user_sgpr_private_segment_size 0
		.amdhsa_uses_dynamic_stack 0
		.amdhsa_system_sgpr_private_segment_wavefront_offset 0
		.amdhsa_system_sgpr_workgroup_id_x 1
		.amdhsa_system_sgpr_workgroup_id_y 0
		.amdhsa_system_sgpr_workgroup_id_z 0
		.amdhsa_system_sgpr_workgroup_info 0
		.amdhsa_system_vgpr_workitem_id 0
		.amdhsa_next_free_vgpr 21
		.amdhsa_next_free_sgpr 24
		.amdhsa_accum_offset 24
		.amdhsa_reserve_vcc 1
		.amdhsa_reserve_flat_scratch 0
		.amdhsa_float_round_mode_32 0
		.amdhsa_float_round_mode_16_64 0
		.amdhsa_float_denorm_mode_32 3
		.amdhsa_float_denorm_mode_16_64 3
		.amdhsa_dx10_clamp 1
		.amdhsa_ieee_mode 1
		.amdhsa_fp16_overflow 0
		.amdhsa_tg_split 0
		.amdhsa_exception_fp_ieee_invalid_op 0
		.amdhsa_exception_fp_denorm_src 0
		.amdhsa_exception_fp_ieee_div_zero 0
		.amdhsa_exception_fp_ieee_overflow 0
		.amdhsa_exception_fp_ieee_underflow 0
		.amdhsa_exception_fp_ieee_inexact 0
		.amdhsa_exception_int_div_zero 0
	.end_amdhsa_kernel
	.section	.text._Z10pnpoly_optILi4EEvPiPK15HIP_vector_typeIfLj2EES4_i,"axG",@progbits,_Z10pnpoly_optILi4EEvPiPK15HIP_vector_typeIfLj2EES4_i,comdat
.Lfunc_end3:
	.size	_Z10pnpoly_optILi4EEvPiPK15HIP_vector_typeIfLj2EES4_i, .Lfunc_end3-_Z10pnpoly_optILi4EEvPiPK15HIP_vector_typeIfLj2EES4_i
                                        ; -- End function
	.section	.AMDGPU.csdata,"",@progbits
; Kernel info:
; codeLenInByte = 776
; NumSgprs: 28
; NumVgprs: 21
; NumAgprs: 0
; TotalNumVgprs: 21
; ScratchSize: 0
; MemoryBound: 0
; FloatMode: 240
; IeeeMode: 1
; LDSByteSize: 0 bytes/workgroup (compile time only)
; SGPRBlocks: 3
; VGPRBlocks: 2
; NumSGPRsForWavesPerEU: 28
; NumVGPRsForWavesPerEU: 21
; AccumOffset: 24
; Occupancy: 8
; WaveLimiterHint : 0
; COMPUTE_PGM_RSRC2:SCRATCH_EN: 0
; COMPUTE_PGM_RSRC2:USER_SGPR: 6
; COMPUTE_PGM_RSRC2:TRAP_HANDLER: 0
; COMPUTE_PGM_RSRC2:TGID_X_EN: 1
; COMPUTE_PGM_RSRC2:TGID_Y_EN: 0
; COMPUTE_PGM_RSRC2:TGID_Z_EN: 0
; COMPUTE_PGM_RSRC2:TIDIG_COMP_CNT: 0
; COMPUTE_PGM_RSRC3_GFX90A:ACCUM_OFFSET: 5
; COMPUTE_PGM_RSRC3_GFX90A:TG_SPLIT: 0
	.section	.text._Z10pnpoly_optILi8EEvPiPK15HIP_vector_typeIfLj2EES4_i,"axG",@progbits,_Z10pnpoly_optILi8EEvPiPK15HIP_vector_typeIfLj2EES4_i,comdat
	.protected	_Z10pnpoly_optILi8EEvPiPK15HIP_vector_typeIfLj2EES4_i ; -- Begin function _Z10pnpoly_optILi8EEvPiPK15HIP_vector_typeIfLj2EES4_i
	.globl	_Z10pnpoly_optILi8EEvPiPK15HIP_vector_typeIfLj2EES4_i
	.p2align	8
	.type	_Z10pnpoly_optILi8EEvPiPK15HIP_vector_typeIfLj2EES4_i,@function
_Z10pnpoly_optILi8EEvPiPK15HIP_vector_typeIfLj2EES4_i: ; @_Z10pnpoly_optILi8EEvPiPK15HIP_vector_typeIfLj2EES4_i
; %bb.0:
	s_load_dword s20, s[4:5], 0x18
	v_lshl_or_b32 v8, s6, 11, v0
	s_waitcnt lgkmcnt(0)
	v_cmp_gt_i32_e32 vcc, s20, v8
	s_and_saveexec_b64 s[0:1], vcc
	s_cbranch_execz .LBB4_29
; %bb.1:
	s_load_dwordx2 s[8:9], s[4:5], 0x8
	v_ashrrev_i32_e32 v9, 31, v8
	v_lshlrev_b64 v[0:1], 3, v[8:9]
                                        ; implicit-def: $vgpr12
	s_waitcnt lgkmcnt(0)
	v_mov_b32_e32 v2, s9
	v_add_co_u32_e32 v0, vcc, s8, v0
	v_addc_co_u32_e32 v1, vcc, v2, v1, vcc
	global_load_dwordx2 v[10:11], v[0:1], off
	v_add_u32_e32 v2, 0x100, v8
	v_cmp_gt_i32_e64 s[0:1], s20, v2
	s_and_saveexec_b64 s[2:3], s[0:1]
	s_cbranch_execz .LBB4_3
; %bb.2:
	global_load_dwordx2 v[12:13], v[0:1], off offset:2048
.LBB4_3:
	s_or_b64 exec, exec, s[2:3]
	v_add_u32_e32 v2, 0x200, v8
	v_cmp_gt_i32_e64 s[2:3], s20, v2
                                        ; implicit-def: $vgpr16
	s_and_saveexec_b64 s[6:7], s[2:3]
	s_cbranch_execz .LBB4_5
; %bb.4:
	v_add_co_u32_e32 v2, vcc, 0x1000, v0
	v_addc_co_u32_e32 v3, vcc, 0, v1, vcc
	global_load_dwordx2 v[16:17], v[2:3], off
.LBB4_5:
	s_or_b64 exec, exec, s[6:7]
	v_add_u32_e32 v2, 0x300, v8
	v_cmp_gt_i32_e64 s[14:15], s20, v2
                                        ; implicit-def: $vgpr18
	s_and_saveexec_b64 s[6:7], s[14:15]
	s_cbranch_execz .LBB4_7
; %bb.6:
	v_add_co_u32_e32 v2, vcc, 0x1000, v0
	v_addc_co_u32_e32 v3, vcc, 0, v1, vcc
	global_load_dwordx2 v[18:19], v[2:3], off offset:2048
.LBB4_7:
	s_or_b64 exec, exec, s[6:7]
	v_or_b32_e32 v14, 0x400, v8
	v_cmp_gt_i32_e64 s[6:7], s20, v14
	v_ashrrev_i32_e32 v15, 31, v14
                                        ; implicit-def: $vgpr20
	s_and_saveexec_b64 s[10:11], s[6:7]
	s_cbranch_execz .LBB4_9
; %bb.8:
	v_lshlrev_b64 v[2:3], 3, v[14:15]
	v_mov_b32_e32 v4, s9
	v_add_co_u32_e32 v2, vcc, s8, v2
	v_addc_co_u32_e32 v3, vcc, v4, v3, vcc
	global_load_dwordx2 v[20:21], v[2:3], off
.LBB4_9:
	s_or_b64 exec, exec, s[10:11]
	v_add_u32_e32 v2, 0x500, v8
	v_cmp_gt_i32_e64 s[8:9], s20, v2
                                        ; implicit-def: $vgpr22
	s_and_saveexec_b64 s[10:11], s[8:9]
	s_cbranch_execz .LBB4_11
; %bb.10:
	v_add_co_u32_e32 v2, vcc, 0x2000, v0
	v_addc_co_u32_e32 v3, vcc, 0, v1, vcc
	global_load_dwordx2 v[22:23], v[2:3], off offset:2048
.LBB4_11:
	s_or_b64 exec, exec, s[10:11]
	s_load_dwordx2 s[18:19], s[4:5], 0x10
	v_add_u32_e32 v2, 0x600, v8
	v_cmp_gt_i32_e64 s[10:11], s20, v2
                                        ; implicit-def: $vgpr24
	s_and_saveexec_b64 s[12:13], s[10:11]
	s_cbranch_execz .LBB4_13
; %bb.12:
	v_add_co_u32_e32 v2, vcc, 0x3000, v0
	v_addc_co_u32_e32 v3, vcc, 0, v1, vcc
	global_load_dwordx2 v[24:25], v[2:3], off
.LBB4_13:
	s_or_b64 exec, exec, s[12:13]
	s_load_dwordx2 s[16:17], s[4:5], 0x0
	v_add_u32_e32 v2, 0x700, v8
	v_cmp_gt_i32_e64 s[12:13], s20, v2
                                        ; implicit-def: $vgpr26
	s_and_saveexec_b64 s[4:5], s[12:13]
	s_cbranch_execz .LBB4_15
; %bb.14:
	v_add_co_u32_e32 v0, vcc, 0x3000, v0
	v_addc_co_u32_e32 v1, vcc, 0, v1, vcc
	global_load_dwordx2 v[26:27], v[0:1], off offset:2048
.LBB4_15:
	s_or_b64 exec, exec, s[4:5]
	s_waitcnt lgkmcnt(0)
	s_load_dwordx2 s[24:25], s[18:19], 0x12b8
	s_mov_b32 s36, 0
	s_mov_b32 s37, s36
	;; [unrolled: 1-line block ×8, first 2 shown]
	v_pk_mov_b32 v[0:1], s[36:37], s[36:37] op_sel:[0,1]
	s_mov_b64 s[20:21], 0
	v_pk_mov_b32 v[2:3], s[38:39], s[38:39] op_sel:[0,1]
	v_pk_mov_b32 v[4:5], s[40:41], s[40:41] op_sel:[0,1]
	v_pk_mov_b32 v[6:7], s[42:43], s[42:43] op_sel:[0,1]
	s_branch .LBB4_18
.LBB4_16:                               ;   in Loop: Header=BB4_18 Depth=1
	s_or_b64 exec, exec, s[26:27]
.LBB4_17:                               ;   in Loop: Header=BB4_18 Depth=1
	s_or_b64 exec, exec, s[4:5]
	v_cmp_gt_f32_e32 vcc, s23, v13
	v_cmp_ngt_f32_e64 s[4:5], s25, v13
	v_subrev_f32_e32 v29, s23, v13
	s_xor_b64 s[4:5], vcc, s[4:5]
	v_fma_f32 v29, v28, v29, s22
	s_xor_b64 s[26:27], s[4:5], -1
	v_cmp_lt_f32_e32 vcc, v12, v29
	v_cmp_eq_u32_e64 s[4:5], 0, v1
	v_cndmask_b32_e64 v29, 0, 1, s[4:5]
	s_and_b64 vcc, s[26:27], vcc
	v_cndmask_b32_e32 v1, v1, v29, vcc
	v_cmp_gt_f32_e32 vcc, s23, v17
	v_cmp_ngt_f32_e64 s[4:5], s25, v17
	v_subrev_f32_e32 v29, s23, v17
	s_xor_b64 s[4:5], vcc, s[4:5]
	v_fma_f32 v29, v28, v29, s22
	s_xor_b64 s[26:27], s[4:5], -1
	v_cmp_lt_f32_e32 vcc, v16, v29
	v_cmp_eq_u32_e64 s[4:5], 0, v2
	v_cndmask_b32_e64 v29, 0, 1, s[4:5]
	s_and_b64 vcc, s[26:27], vcc
	v_cndmask_b32_e32 v2, v2, v29, vcc
	;; [unrolled: 11-line block ×6, first 2 shown]
	v_cmp_gt_f32_e32 vcc, s23, v27
	v_cmp_ngt_f32_e64 s[4:5], s25, v27
	v_subrev_f32_e32 v29, s23, v27
	s_xor_b64 s[4:5], vcc, s[4:5]
	v_fma_f32 v28, v28, v29, s22
	s_xor_b64 s[24:25], s[4:5], -1
	v_cmp_lt_f32_e32 vcc, v26, v28
	s_and_b64 vcc, s[24:25], vcc
	v_cmp_eq_u32_e64 s[4:5], 0, v7
	s_add_u32 s20, s20, 8
	v_cndmask_b32_e64 v28, 0, 1, s[4:5]
	s_addc_u32 s21, s21, 0
	v_cndmask_b32_e32 v7, v7, v28, vcc
	s_cmpk_lg_i32 s20, 0x12c0
	s_mov_b64 s[24:25], s[22:23]
	s_cbranch_scc0 .LBB4_21
.LBB4_18:                               ; =>This Inner Loop Header: Depth=1
	s_add_u32 s4, s18, s20
	s_addc_u32 s5, s19, s21
	s_load_dwordx2 s[22:23], s[4:5], 0x0
	s_waitcnt vmcnt(0) lgkmcnt(0)
	v_cmp_ngt_f32_e32 vcc, s25, v11
	v_pk_mov_b32 v[28:29], s[22:23], s[22:23] op_sel:[0,1]
	v_pk_add_f32 v[28:29], s[24:25], v[28:29] neg_lo:[0,1] neg_hi:[0,1]
	v_div_scale_f32 v30, s[26:27], v29, v29, v28
	v_rcp_f32_e32 v31, v30
	v_cmp_gt_f32_e64 s[4:5], s23, v11
	s_xor_b64 s[4:5], s[4:5], vcc
	v_div_scale_f32 v32, vcc, v28, v29, v28
	v_fma_f32 v33, -v30, v31, 1.0
	v_fmac_f32_e32 v31, v33, v31
	v_mul_f32_e32 v33, v32, v31
	v_fma_f32 v34, -v30, v33, v32
	v_fmac_f32_e32 v33, v34, v31
	v_fma_f32 v30, -v30, v33, v32
	v_div_fmas_f32 v30, v30, v31, v33
	v_div_fixup_f32 v28, v30, v29, v28
	s_xor_b64 s[26:27], s[4:5], -1
	s_and_saveexec_b64 s[4:5], s[26:27]
	s_cbranch_execz .LBB4_17
; %bb.19:                               ;   in Loop: Header=BB4_18 Depth=1
	v_subrev_f32_e32 v29, s23, v11
	v_fma_f32 v29, v28, v29, s22
	v_cmp_lt_f32_e32 vcc, v10, v29
	s_and_saveexec_b64 s[26:27], vcc
	s_cbranch_execz .LBB4_16
; %bb.20:                               ;   in Loop: Header=BB4_18 Depth=1
	v_cmp_eq_u32_e32 vcc, 0, v0
	v_cndmask_b32_e64 v0, 0, 1, vcc
	s_branch .LBB4_16
.LBB4_21:
	v_lshlrev_b64 v[8:9], 2, v[8:9]
	v_mov_b32_e32 v10, s17
	v_add_co_u32_e32 v8, vcc, s16, v8
	v_addc_co_u32_e32 v9, vcc, v10, v9, vcc
	global_store_dword v[8:9], v0, off
	s_and_saveexec_b64 s[4:5], s[0:1]
	s_cbranch_execnz .LBB4_30
; %bb.22:
	s_or_b64 exec, exec, s[4:5]
	s_and_saveexec_b64 s[0:1], s[2:3]
	s_cbranch_execnz .LBB4_31
.LBB4_23:
	s_or_b64 exec, exec, s[0:1]
	s_and_saveexec_b64 s[0:1], s[14:15]
	s_cbranch_execnz .LBB4_32
.LBB4_24:
	s_or_b64 exec, exec, s[0:1]
	s_and_saveexec_b64 s[0:1], s[6:7]
	s_cbranch_execnz .LBB4_33
.LBB4_25:
	s_or_b64 exec, exec, s[0:1]
	s_and_saveexec_b64 s[0:1], s[8:9]
	s_cbranch_execnz .LBB4_34
.LBB4_26:
	s_or_b64 exec, exec, s[0:1]
	s_and_saveexec_b64 s[0:1], s[10:11]
	s_cbranch_execnz .LBB4_35
.LBB4_27:
	s_or_b64 exec, exec, s[0:1]
	s_and_b64 exec, exec, s[12:13]
	s_cbranch_execz .LBB4_29
.LBB4_28:
	v_add_co_u32_e32 v0, vcc, 0x1000, v8
	v_addc_co_u32_e32 v1, vcc, 0, v9, vcc
	global_store_dword v[0:1], v7, off offset:3072
.LBB4_29:
	s_endpgm
.LBB4_30:
	global_store_dword v[8:9], v1, off offset:1024
	s_or_b64 exec, exec, s[4:5]
	s_and_saveexec_b64 s[0:1], s[2:3]
	s_cbranch_execz .LBB4_23
.LBB4_31:
	global_store_dword v[8:9], v2, off offset:2048
	s_or_b64 exec, exec, s[0:1]
	s_and_saveexec_b64 s[0:1], s[14:15]
	s_cbranch_execz .LBB4_24
.LBB4_32:
	global_store_dword v[8:9], v3, off offset:3072
	s_or_b64 exec, exec, s[0:1]
	s_and_saveexec_b64 s[0:1], s[6:7]
	s_cbranch_execz .LBB4_25
.LBB4_33:
	v_lshlrev_b64 v[0:1], 2, v[14:15]
	v_mov_b32_e32 v2, s17
	v_add_co_u32_e32 v0, vcc, s16, v0
	v_addc_co_u32_e32 v1, vcc, v2, v1, vcc
	global_store_dword v[0:1], v4, off
	s_or_b64 exec, exec, s[0:1]
	s_and_saveexec_b64 s[0:1], s[8:9]
	s_cbranch_execz .LBB4_26
.LBB4_34:
	v_add_co_u32_e32 v0, vcc, 0x1000, v8
	v_addc_co_u32_e32 v1, vcc, 0, v9, vcc
	global_store_dword v[0:1], v5, off offset:1024
	s_or_b64 exec, exec, s[0:1]
	s_and_saveexec_b64 s[0:1], s[10:11]
	s_cbranch_execz .LBB4_27
.LBB4_35:
	v_add_co_u32_e32 v0, vcc, 0x1000, v8
	v_addc_co_u32_e32 v1, vcc, 0, v9, vcc
	global_store_dword v[0:1], v6, off offset:2048
	s_or_b64 exec, exec, s[0:1]
	s_and_b64 exec, exec, s[12:13]
	s_cbranch_execnz .LBB4_28
	s_branch .LBB4_29
	.section	.rodata,"a",@progbits
	.p2align	6, 0x0
	.amdhsa_kernel _Z10pnpoly_optILi8EEvPiPK15HIP_vector_typeIfLj2EES4_i
		.amdhsa_group_segment_fixed_size 0
		.amdhsa_private_segment_fixed_size 0
		.amdhsa_kernarg_size 28
		.amdhsa_user_sgpr_count 6
		.amdhsa_user_sgpr_private_segment_buffer 1
		.amdhsa_user_sgpr_dispatch_ptr 0
		.amdhsa_user_sgpr_queue_ptr 0
		.amdhsa_user_sgpr_kernarg_segment_ptr 1
		.amdhsa_user_sgpr_dispatch_id 0
		.amdhsa_user_sgpr_flat_scratch_init 0
		.amdhsa_user_sgpr_kernarg_preload_length 0
		.amdhsa_user_sgpr_kernarg_preload_offset 0
		.amdhsa_user_sgpr_private_segment_size 0
		.amdhsa_uses_dynamic_stack 0
		.amdhsa_system_sgpr_private_segment_wavefront_offset 0
		.amdhsa_system_sgpr_workgroup_id_x 1
		.amdhsa_system_sgpr_workgroup_id_y 0
		.amdhsa_system_sgpr_workgroup_id_z 0
		.amdhsa_system_sgpr_workgroup_info 0
		.amdhsa_system_vgpr_workitem_id 0
		.amdhsa_next_free_vgpr 35
		.amdhsa_next_free_sgpr 44
		.amdhsa_accum_offset 36
		.amdhsa_reserve_vcc 1
		.amdhsa_reserve_flat_scratch 0
		.amdhsa_float_round_mode_32 0
		.amdhsa_float_round_mode_16_64 0
		.amdhsa_float_denorm_mode_32 3
		.amdhsa_float_denorm_mode_16_64 3
		.amdhsa_dx10_clamp 1
		.amdhsa_ieee_mode 1
		.amdhsa_fp16_overflow 0
		.amdhsa_tg_split 0
		.amdhsa_exception_fp_ieee_invalid_op 0
		.amdhsa_exception_fp_denorm_src 0
		.amdhsa_exception_fp_ieee_div_zero 0
		.amdhsa_exception_fp_ieee_overflow 0
		.amdhsa_exception_fp_ieee_underflow 0
		.amdhsa_exception_fp_ieee_inexact 0
		.amdhsa_exception_int_div_zero 0
	.end_amdhsa_kernel
	.section	.text._Z10pnpoly_optILi8EEvPiPK15HIP_vector_typeIfLj2EES4_i,"axG",@progbits,_Z10pnpoly_optILi8EEvPiPK15HIP_vector_typeIfLj2EES4_i,comdat
.Lfunc_end4:
	.size	_Z10pnpoly_optILi8EEvPiPK15HIP_vector_typeIfLj2EES4_i, .Lfunc_end4-_Z10pnpoly_optILi8EEvPiPK15HIP_vector_typeIfLj2EES4_i
                                        ; -- End function
	.section	.AMDGPU.csdata,"",@progbits
; Kernel info:
; codeLenInByte = 1436
; NumSgprs: 48
; NumVgprs: 35
; NumAgprs: 0
; TotalNumVgprs: 35
; ScratchSize: 0
; MemoryBound: 0
; FloatMode: 240
; IeeeMode: 1
; LDSByteSize: 0 bytes/workgroup (compile time only)
; SGPRBlocks: 5
; VGPRBlocks: 4
; NumSGPRsForWavesPerEU: 48
; NumVGPRsForWavesPerEU: 35
; AccumOffset: 36
; Occupancy: 8
; WaveLimiterHint : 0
; COMPUTE_PGM_RSRC2:SCRATCH_EN: 0
; COMPUTE_PGM_RSRC2:USER_SGPR: 6
; COMPUTE_PGM_RSRC2:TRAP_HANDLER: 0
; COMPUTE_PGM_RSRC2:TGID_X_EN: 1
; COMPUTE_PGM_RSRC2:TGID_Y_EN: 0
; COMPUTE_PGM_RSRC2:TGID_Z_EN: 0
; COMPUTE_PGM_RSRC2:TIDIG_COMP_CNT: 0
; COMPUTE_PGM_RSRC3_GFX90A:ACCUM_OFFSET: 8
; COMPUTE_PGM_RSRC3_GFX90A:TG_SPLIT: 0
	.section	.text._Z10pnpoly_optILi16EEvPiPK15HIP_vector_typeIfLj2EES4_i,"axG",@progbits,_Z10pnpoly_optILi16EEvPiPK15HIP_vector_typeIfLj2EES4_i,comdat
	.protected	_Z10pnpoly_optILi16EEvPiPK15HIP_vector_typeIfLj2EES4_i ; -- Begin function _Z10pnpoly_optILi16EEvPiPK15HIP_vector_typeIfLj2EES4_i
	.globl	_Z10pnpoly_optILi16EEvPiPK15HIP_vector_typeIfLj2EES4_i
	.p2align	8
	.type	_Z10pnpoly_optILi16EEvPiPK15HIP_vector_typeIfLj2EES4_i,@function
_Z10pnpoly_optILi16EEvPiPK15HIP_vector_typeIfLj2EES4_i: ; @_Z10pnpoly_optILi16EEvPiPK15HIP_vector_typeIfLj2EES4_i
; %bb.0:
	s_load_dword s33, s[4:5], 0x18
	v_lshl_or_b32 v16, s6, 12, v0
	s_waitcnt lgkmcnt(0)
	v_cmp_gt_i32_e32 vcc, s33, v16
	s_and_saveexec_b64 s[0:1], vcc
	s_cbranch_execz .LBB5_53
; %bb.1:
	s_load_dwordx2 s[24:25], s[4:5], 0x8
	v_ashrrev_i32_e32 v17, 31, v16
	v_lshlrev_b64 v[0:1], 3, v[16:17]
                                        ; implicit-def: $vgpr20
	s_waitcnt lgkmcnt(0)
	v_mov_b32_e32 v2, s25
	v_add_co_u32_e32 v0, vcc, s24, v0
	v_addc_co_u32_e32 v1, vcc, v2, v1, vcc
	global_load_dwordx2 v[18:19], v[0:1], off
	v_add_u32_e32 v2, 0x100, v16
	v_cmp_gt_i32_e64 s[0:1], s33, v2
	s_and_saveexec_b64 s[2:3], s[0:1]
	s_cbranch_execz .LBB5_3
; %bb.2:
	global_load_dwordx2 v[20:21], v[0:1], off offset:2048
.LBB5_3:
	s_or_b64 exec, exec, s[2:3]
	v_add_u32_e32 v2, 0x200, v16
	v_cmp_gt_i32_e64 s[2:3], s33, v2
                                        ; implicit-def: $vgpr24
	s_and_saveexec_b64 s[6:7], s[2:3]
	s_cbranch_execz .LBB5_5
; %bb.4:
	v_add_co_u32_e32 v2, vcc, 0x1000, v0
	v_addc_co_u32_e32 v3, vcc, 0, v1, vcc
	global_load_dwordx2 v[24:25], v[2:3], off
.LBB5_5:
	s_or_b64 exec, exec, s[6:7]
	v_add_u32_e32 v2, 0x300, v16
	v_cmp_gt_i32_e64 s[30:31], s33, v2
                                        ; implicit-def: $vgpr26
	s_and_saveexec_b64 s[6:7], s[30:31]
	s_cbranch_execz .LBB5_7
; %bb.6:
	v_add_co_u32_e32 v2, vcc, 0x1000, v0
	v_addc_co_u32_e32 v3, vcc, 0, v1, vcc
	global_load_dwordx2 v[26:27], v[2:3], off offset:2048
.LBB5_7:
	s_or_b64 exec, exec, s[6:7]
	v_or_b32_e32 v22, 0x400, v16
	v_cmp_gt_i32_e64 s[6:7], s33, v22
	v_ashrrev_i32_e32 v23, 31, v22
                                        ; implicit-def: $vgpr30
	s_and_saveexec_b64 s[8:9], s[6:7]
	s_cbranch_execz .LBB5_9
; %bb.8:
	v_lshlrev_b64 v[2:3], 3, v[22:23]
	v_mov_b32_e32 v4, s25
	v_add_co_u32_e32 v2, vcc, s24, v2
	v_addc_co_u32_e32 v3, vcc, v4, v3, vcc
	global_load_dwordx2 v[30:31], v[2:3], off
.LBB5_9:
	s_or_b64 exec, exec, s[8:9]
	v_add_u32_e32 v2, 0x500, v16
	v_cmp_gt_i32_e64 s[8:9], s33, v2
                                        ; implicit-def: $vgpr34
	s_and_saveexec_b64 s[10:11], s[8:9]
	s_cbranch_execz .LBB5_11
; %bb.10:
	v_add_co_u32_e32 v2, vcc, 0x2000, v0
	v_addc_co_u32_e32 v3, vcc, 0, v1, vcc
	global_load_dwordx2 v[34:35], v[2:3], off offset:2048
.LBB5_11:
	s_or_b64 exec, exec, s[10:11]
	v_add_u32_e32 v2, 0x600, v16
	v_cmp_gt_i32_e64 s[10:11], s33, v2
                                        ; implicit-def: $vgpr36
	s_and_saveexec_b64 s[12:13], s[10:11]
	s_cbranch_execz .LBB5_13
; %bb.12:
	v_add_co_u32_e32 v2, vcc, 0x3000, v0
	v_addc_co_u32_e32 v3, vcc, 0, v1, vcc
	global_load_dwordx2 v[36:37], v[2:3], off
.LBB5_13:
	s_or_b64 exec, exec, s[12:13]
	v_add_u32_e32 v2, 0x700, v16
	v_cmp_gt_i32_e64 s[12:13], s33, v2
                                        ; implicit-def: $vgpr38
	s_and_saveexec_b64 s[14:15], s[12:13]
	s_cbranch_execz .LBB5_15
; %bb.14:
	v_add_co_u32_e32 v2, vcc, 0x3000, v0
	v_addc_co_u32_e32 v3, vcc, 0, v1, vcc
	global_load_dwordx2 v[38:39], v[2:3], off offset:2048
.LBB5_15:
	s_or_b64 exec, exec, s[14:15]
	v_or_b32_e32 v28, 0x800, v16
	v_cmp_gt_i32_e64 s[14:15], s33, v28
	v_ashrrev_i32_e32 v29, 31, v28
                                        ; implicit-def: $vgpr40
	s_and_saveexec_b64 s[16:17], s[14:15]
	s_cbranch_execz .LBB5_17
; %bb.16:
	v_lshlrev_b64 v[2:3], 3, v[28:29]
	v_mov_b32_e32 v4, s25
	v_add_co_u32_e32 v2, vcc, s24, v2
	v_addc_co_u32_e32 v3, vcc, v4, v3, vcc
	global_load_dwordx2 v[40:41], v[2:3], off
.LBB5_17:
	s_or_b64 exec, exec, s[16:17]
	v_add_u32_e32 v2, 0x900, v16
	v_cmp_gt_i32_e64 s[16:17], s33, v2
                                        ; implicit-def: $vgpr42
	s_and_saveexec_b64 s[18:19], s[16:17]
	s_cbranch_execz .LBB5_19
; %bb.18:
	v_add_co_u32_e32 v2, vcc, 0x4000, v0
	v_addc_co_u32_e32 v3, vcc, 0, v1, vcc
	global_load_dwordx2 v[42:43], v[2:3], off offset:2048
.LBB5_19:
	s_or_b64 exec, exec, s[18:19]
	v_add_u32_e32 v2, 0xa00, v16
	v_cmp_gt_i32_e64 s[18:19], s33, v2
                                        ; implicit-def: $vgpr44
	s_and_saveexec_b64 s[20:21], s[18:19]
	s_cbranch_execz .LBB5_21
; %bb.20:
	v_add_co_u32_e32 v2, vcc, 0x5000, v0
	v_addc_co_u32_e32 v3, vcc, 0, v1, vcc
	global_load_dwordx2 v[44:45], v[2:3], off
.LBB5_21:
	s_or_b64 exec, exec, s[20:21]
	v_add_u32_e32 v2, 0xb00, v16
	v_cmp_gt_i32_e64 s[20:21], s33, v2
                                        ; implicit-def: $vgpr46
	s_and_saveexec_b64 s[22:23], s[20:21]
	s_cbranch_execz .LBB5_23
; %bb.22:
	v_add_co_u32_e32 v2, vcc, 0x5000, v0
	v_addc_co_u32_e32 v3, vcc, 0, v1, vcc
	global_load_dwordx2 v[46:47], v[2:3], off offset:2048
.LBB5_23:
	s_or_b64 exec, exec, s[22:23]
	v_or_b32_e32 v32, 0xc00, v16
	v_cmp_gt_i32_e64 s[22:23], s33, v32
	v_ashrrev_i32_e32 v33, 31, v32
                                        ; implicit-def: $vgpr48
	s_and_saveexec_b64 s[26:27], s[22:23]
	s_cbranch_execz .LBB5_25
; %bb.24:
	v_lshlrev_b64 v[2:3], 3, v[32:33]
	v_mov_b32_e32 v4, s25
	v_add_co_u32_e32 v2, vcc, s24, v2
	v_addc_co_u32_e32 v3, vcc, v4, v3, vcc
	global_load_dwordx2 v[48:49], v[2:3], off
.LBB5_25:
	s_or_b64 exec, exec, s[26:27]
	v_add_u32_e32 v2, 0xd00, v16
	v_cmp_gt_i32_e64 s[24:25], s33, v2
                                        ; implicit-def: $vgpr50
	s_and_saveexec_b64 s[26:27], s[24:25]
	s_cbranch_execz .LBB5_27
; %bb.26:
	v_add_co_u32_e32 v2, vcc, 0x6000, v0
	v_addc_co_u32_e32 v3, vcc, 0, v1, vcc
	global_load_dwordx2 v[50:51], v[2:3], off offset:2048
.LBB5_27:
	s_or_b64 exec, exec, s[26:27]
	s_load_dwordx2 s[52:53], s[4:5], 0x10
	v_add_u32_e32 v2, 0xe00, v16
	v_cmp_gt_i32_e64 s[26:27], s33, v2
                                        ; implicit-def: $vgpr52
	s_and_saveexec_b64 s[28:29], s[26:27]
	s_cbranch_execz .LBB5_29
; %bb.28:
	v_add_co_u32_e32 v2, vcc, 0x7000, v0
	v_addc_co_u32_e32 v3, vcc, 0, v1, vcc
	global_load_dwordx2 v[52:53], v[2:3], off
.LBB5_29:
	s_or_b64 exec, exec, s[28:29]
	s_load_dwordx2 s[34:35], s[4:5], 0x0
	v_add_u32_e32 v2, 0xf00, v16
	v_cmp_gt_i32_e64 s[28:29], s33, v2
                                        ; implicit-def: $vgpr54
	s_and_saveexec_b64 s[4:5], s[28:29]
	s_cbranch_execz .LBB5_31
; %bb.30:
	v_add_co_u32_e32 v0, vcc, 0x7000, v0
	v_addc_co_u32_e32 v1, vcc, 0, v1, vcc
	global_load_dwordx2 v[54:55], v[0:1], off offset:2048
.LBB5_31:
	s_or_b64 exec, exec, s[4:5]
	s_waitcnt lgkmcnt(0)
	s_load_dwordx2 s[56:57], s[52:53], 0x12b8
	s_mov_b32 s36, 0
	s_mov_b32 s37, s36
	;; [unrolled: 1-line block ×16, first 2 shown]
	v_pk_mov_b32 v[0:1], s[36:37], s[36:37] op_sel:[0,1]
	s_mov_b64 s[54:55], 0
	v_pk_mov_b32 v[2:3], s[38:39], s[38:39] op_sel:[0,1]
	v_pk_mov_b32 v[4:5], s[40:41], s[40:41] op_sel:[0,1]
	v_pk_mov_b32 v[6:7], s[42:43], s[42:43] op_sel:[0,1]
	v_pk_mov_b32 v[8:9], s[44:45], s[44:45] op_sel:[0,1]
	v_pk_mov_b32 v[10:11], s[46:47], s[46:47] op_sel:[0,1]
	v_pk_mov_b32 v[12:13], s[48:49], s[48:49] op_sel:[0,1]
	v_pk_mov_b32 v[14:15], s[50:51], s[50:51] op_sel:[0,1]
	s_branch .LBB5_34
.LBB5_32:                               ;   in Loop: Header=BB5_34 Depth=1
	s_or_b64 exec, exec, s[38:39]
.LBB5_33:                               ;   in Loop: Header=BB5_34 Depth=1
	s_or_b64 exec, exec, s[4:5]
	v_cmp_gt_f32_e32 vcc, s37, v21
	v_cmp_ngt_f32_e64 s[4:5], s57, v21
	v_subrev_f32_e32 v57, s37, v21
	s_xor_b64 s[4:5], vcc, s[4:5]
	v_fma_f32 v57, v56, v57, s36
	s_xor_b64 s[38:39], s[4:5], -1
	v_cmp_lt_f32_e32 vcc, v20, v57
	v_cmp_eq_u32_e64 s[4:5], 0, v1
	v_cndmask_b32_e64 v57, 0, 1, s[4:5]
	s_and_b64 vcc, s[38:39], vcc
	v_cndmask_b32_e32 v1, v1, v57, vcc
	v_cmp_gt_f32_e32 vcc, s37, v25
	v_cmp_ngt_f32_e64 s[4:5], s57, v25
	v_subrev_f32_e32 v57, s37, v25
	s_xor_b64 s[4:5], vcc, s[4:5]
	v_fma_f32 v57, v56, v57, s36
	s_xor_b64 s[38:39], s[4:5], -1
	v_cmp_lt_f32_e32 vcc, v24, v57
	v_cmp_eq_u32_e64 s[4:5], 0, v2
	v_cndmask_b32_e64 v57, 0, 1, s[4:5]
	s_and_b64 vcc, s[38:39], vcc
	v_cndmask_b32_e32 v2, v2, v57, vcc
	;; [unrolled: 11-line block ×14, first 2 shown]
	v_cmp_gt_f32_e32 vcc, s37, v55
	v_cmp_ngt_f32_e64 s[4:5], s57, v55
	v_subrev_f32_e32 v57, s37, v55
	s_xor_b64 s[4:5], vcc, s[4:5]
	v_fma_f32 v56, v56, v57, s36
	s_xor_b64 s[38:39], s[4:5], -1
	v_cmp_lt_f32_e32 vcc, v54, v56
	s_and_b64 vcc, s[38:39], vcc
	v_cmp_eq_u32_e64 s[4:5], 0, v15
	s_add_u32 s54, s54, 8
	v_cndmask_b32_e64 v56, 0, 1, s[4:5]
	s_addc_u32 s55, s55, 0
	v_cndmask_b32_e32 v15, v15, v56, vcc
	s_cmpk_lg_i32 s54, 0x12c0
	s_mov_b64 s[56:57], s[36:37]
	s_cbranch_scc0 .LBB5_37
.LBB5_34:                               ; =>This Inner Loop Header: Depth=1
	s_add_u32 s4, s52, s54
	s_addc_u32 s5, s53, s55
	s_load_dwordx2 s[36:37], s[4:5], 0x0
	s_waitcnt vmcnt(0) lgkmcnt(0)
	v_cmp_ngt_f32_e32 vcc, s57, v19
	v_pk_mov_b32 v[56:57], s[36:37], s[36:37] op_sel:[0,1]
	v_pk_add_f32 v[56:57], s[56:57], v[56:57] neg_lo:[0,1] neg_hi:[0,1]
	v_div_scale_f32 v58, s[38:39], v57, v57, v56
	v_rcp_f32_e32 v59, v58
	v_cmp_gt_f32_e64 s[4:5], s37, v19
	s_xor_b64 s[4:5], s[4:5], vcc
	v_div_scale_f32 v60, vcc, v56, v57, v56
	v_fma_f32 v61, -v58, v59, 1.0
	v_fmac_f32_e32 v59, v61, v59
	v_mul_f32_e32 v61, v60, v59
	v_fma_f32 v62, -v58, v61, v60
	v_fmac_f32_e32 v61, v62, v59
	v_fma_f32 v58, -v58, v61, v60
	v_div_fmas_f32 v58, v58, v59, v61
	v_div_fixup_f32 v56, v58, v57, v56
	s_xor_b64 s[38:39], s[4:5], -1
	s_and_saveexec_b64 s[4:5], s[38:39]
	s_cbranch_execz .LBB5_33
; %bb.35:                               ;   in Loop: Header=BB5_34 Depth=1
	v_subrev_f32_e32 v57, s37, v19
	v_fma_f32 v57, v56, v57, s36
	v_cmp_lt_f32_e32 vcc, v18, v57
	s_and_saveexec_b64 s[38:39], vcc
	s_cbranch_execz .LBB5_32
; %bb.36:                               ;   in Loop: Header=BB5_34 Depth=1
	v_cmp_eq_u32_e32 vcc, 0, v0
	v_cndmask_b32_e64 v0, 0, 1, vcc
	s_branch .LBB5_32
.LBB5_37:
	v_lshlrev_b64 v[16:17], 2, v[16:17]
	v_mov_b32_e32 v18, s35
	v_add_co_u32_e32 v16, vcc, s34, v16
	v_addc_co_u32_e32 v17, vcc, v18, v17, vcc
	global_store_dword v[16:17], v0, off
	s_and_saveexec_b64 s[4:5], s[0:1]
	s_cbranch_execnz .LBB5_54
; %bb.38:
	s_or_b64 exec, exec, s[4:5]
	s_and_saveexec_b64 s[0:1], s[2:3]
	s_cbranch_execnz .LBB5_55
.LBB5_39:
	s_or_b64 exec, exec, s[0:1]
	s_and_saveexec_b64 s[0:1], s[30:31]
	s_cbranch_execnz .LBB5_56
.LBB5_40:
	s_or_b64 exec, exec, s[0:1]
	s_and_saveexec_b64 s[0:1], s[6:7]
	s_cbranch_execnz .LBB5_57
.LBB5_41:
	s_or_b64 exec, exec, s[0:1]
	s_and_saveexec_b64 s[0:1], s[8:9]
	s_cbranch_execnz .LBB5_58
.LBB5_42:
	s_or_b64 exec, exec, s[0:1]
	s_and_saveexec_b64 s[0:1], s[10:11]
	s_cbranch_execnz .LBB5_59
.LBB5_43:
	s_or_b64 exec, exec, s[0:1]
	s_and_saveexec_b64 s[0:1], s[12:13]
	s_cbranch_execnz .LBB5_60
.LBB5_44:
	s_or_b64 exec, exec, s[0:1]
	s_and_saveexec_b64 s[0:1], s[14:15]
	s_cbranch_execnz .LBB5_61
.LBB5_45:
	s_or_b64 exec, exec, s[0:1]
	s_and_saveexec_b64 s[0:1], s[16:17]
	s_cbranch_execnz .LBB5_62
.LBB5_46:
	s_or_b64 exec, exec, s[0:1]
	s_and_saveexec_b64 s[0:1], s[18:19]
	s_cbranch_execnz .LBB5_63
.LBB5_47:
	s_or_b64 exec, exec, s[0:1]
	s_and_saveexec_b64 s[0:1], s[20:21]
	s_cbranch_execnz .LBB5_64
.LBB5_48:
	s_or_b64 exec, exec, s[0:1]
	s_and_saveexec_b64 s[0:1], s[22:23]
	s_cbranch_execnz .LBB5_65
.LBB5_49:
	s_or_b64 exec, exec, s[0:1]
	s_and_saveexec_b64 s[0:1], s[24:25]
	s_cbranch_execnz .LBB5_66
.LBB5_50:
	s_or_b64 exec, exec, s[0:1]
	s_and_saveexec_b64 s[0:1], s[26:27]
	s_cbranch_execnz .LBB5_67
.LBB5_51:
	s_or_b64 exec, exec, s[0:1]
	s_and_b64 exec, exec, s[28:29]
	s_cbranch_execz .LBB5_53
.LBB5_52:
	v_add_co_u32_e32 v0, vcc, 0x3000, v16
	v_addc_co_u32_e32 v1, vcc, 0, v17, vcc
	global_store_dword v[0:1], v15, off offset:3072
.LBB5_53:
	s_endpgm
.LBB5_54:
	global_store_dword v[16:17], v1, off offset:1024
	s_or_b64 exec, exec, s[4:5]
	s_and_saveexec_b64 s[0:1], s[2:3]
	s_cbranch_execz .LBB5_39
.LBB5_55:
	global_store_dword v[16:17], v2, off offset:2048
	s_or_b64 exec, exec, s[0:1]
	s_and_saveexec_b64 s[0:1], s[30:31]
	s_cbranch_execz .LBB5_40
.LBB5_56:
	global_store_dword v[16:17], v3, off offset:3072
	s_or_b64 exec, exec, s[0:1]
	s_and_saveexec_b64 s[0:1], s[6:7]
	s_cbranch_execz .LBB5_41
.LBB5_57:
	v_lshlrev_b64 v[0:1], 2, v[22:23]
	v_mov_b32_e32 v2, s35
	v_add_co_u32_e32 v0, vcc, s34, v0
	v_addc_co_u32_e32 v1, vcc, v2, v1, vcc
	global_store_dword v[0:1], v4, off
	s_or_b64 exec, exec, s[0:1]
	s_and_saveexec_b64 s[0:1], s[8:9]
	s_cbranch_execz .LBB5_42
.LBB5_58:
	v_add_co_u32_e32 v0, vcc, 0x1000, v16
	v_addc_co_u32_e32 v1, vcc, 0, v17, vcc
	global_store_dword v[0:1], v5, off offset:1024
	s_or_b64 exec, exec, s[0:1]
	s_and_saveexec_b64 s[0:1], s[10:11]
	s_cbranch_execz .LBB5_43
.LBB5_59:
	v_add_co_u32_e32 v0, vcc, 0x1000, v16
	v_addc_co_u32_e32 v1, vcc, 0, v17, vcc
	global_store_dword v[0:1], v6, off offset:2048
	s_or_b64 exec, exec, s[0:1]
	s_and_saveexec_b64 s[0:1], s[12:13]
	s_cbranch_execz .LBB5_44
.LBB5_60:
	v_add_co_u32_e32 v0, vcc, 0x1000, v16
	v_addc_co_u32_e32 v1, vcc, 0, v17, vcc
	global_store_dword v[0:1], v7, off offset:3072
	s_or_b64 exec, exec, s[0:1]
	s_and_saveexec_b64 s[0:1], s[14:15]
	s_cbranch_execz .LBB5_45
.LBB5_61:
	v_lshlrev_b64 v[0:1], 2, v[28:29]
	v_mov_b32_e32 v2, s35
	v_add_co_u32_e32 v0, vcc, s34, v0
	v_addc_co_u32_e32 v1, vcc, v2, v1, vcc
	global_store_dword v[0:1], v8, off
	s_or_b64 exec, exec, s[0:1]
	s_and_saveexec_b64 s[0:1], s[16:17]
	s_cbranch_execz .LBB5_46
.LBB5_62:
	v_add_co_u32_e32 v0, vcc, 0x2000, v16
	v_addc_co_u32_e32 v1, vcc, 0, v17, vcc
	global_store_dword v[0:1], v9, off offset:1024
	s_or_b64 exec, exec, s[0:1]
	s_and_saveexec_b64 s[0:1], s[18:19]
	s_cbranch_execz .LBB5_47
.LBB5_63:
	v_add_co_u32_e32 v0, vcc, 0x2000, v16
	v_addc_co_u32_e32 v1, vcc, 0, v17, vcc
	global_store_dword v[0:1], v10, off offset:2048
	s_or_b64 exec, exec, s[0:1]
	s_and_saveexec_b64 s[0:1], s[20:21]
	s_cbranch_execz .LBB5_48
.LBB5_64:
	v_add_co_u32_e32 v0, vcc, 0x2000, v16
	v_addc_co_u32_e32 v1, vcc, 0, v17, vcc
	global_store_dword v[0:1], v11, off offset:3072
	s_or_b64 exec, exec, s[0:1]
	s_and_saveexec_b64 s[0:1], s[22:23]
	s_cbranch_execz .LBB5_49
.LBB5_65:
	v_lshlrev_b64 v[0:1], 2, v[32:33]
	v_mov_b32_e32 v2, s35
	v_add_co_u32_e32 v0, vcc, s34, v0
	v_addc_co_u32_e32 v1, vcc, v2, v1, vcc
	global_store_dword v[0:1], v12, off
	s_or_b64 exec, exec, s[0:1]
	s_and_saveexec_b64 s[0:1], s[24:25]
	s_cbranch_execz .LBB5_50
.LBB5_66:
	v_add_co_u32_e32 v0, vcc, 0x3000, v16
	v_addc_co_u32_e32 v1, vcc, 0, v17, vcc
	global_store_dword v[0:1], v13, off offset:1024
	s_or_b64 exec, exec, s[0:1]
	s_and_saveexec_b64 s[0:1], s[26:27]
	s_cbranch_execz .LBB5_51
.LBB5_67:
	v_add_co_u32_e32 v0, vcc, 0x3000, v16
	v_addc_co_u32_e32 v1, vcc, 0, v17, vcc
	global_store_dword v[0:1], v14, off offset:2048
	s_or_b64 exec, exec, s[0:1]
	s_and_b64 exec, exec, s[28:29]
	s_cbranch_execnz .LBB5_52
	s_branch .LBB5_53
	.section	.rodata,"a",@progbits
	.p2align	6, 0x0
	.amdhsa_kernel _Z10pnpoly_optILi16EEvPiPK15HIP_vector_typeIfLj2EES4_i
		.amdhsa_group_segment_fixed_size 0
		.amdhsa_private_segment_fixed_size 0
		.amdhsa_kernarg_size 28
		.amdhsa_user_sgpr_count 6
		.amdhsa_user_sgpr_private_segment_buffer 1
		.amdhsa_user_sgpr_dispatch_ptr 0
		.amdhsa_user_sgpr_queue_ptr 0
		.amdhsa_user_sgpr_kernarg_segment_ptr 1
		.amdhsa_user_sgpr_dispatch_id 0
		.amdhsa_user_sgpr_flat_scratch_init 0
		.amdhsa_user_sgpr_kernarg_preload_length 0
		.amdhsa_user_sgpr_kernarg_preload_offset 0
		.amdhsa_user_sgpr_private_segment_size 0
		.amdhsa_uses_dynamic_stack 0
		.amdhsa_system_sgpr_private_segment_wavefront_offset 0
		.amdhsa_system_sgpr_workgroup_id_x 1
		.amdhsa_system_sgpr_workgroup_id_y 0
		.amdhsa_system_sgpr_workgroup_id_z 0
		.amdhsa_system_sgpr_workgroup_info 0
		.amdhsa_system_vgpr_workitem_id 0
		.amdhsa_next_free_vgpr 63
		.amdhsa_next_free_sgpr 58
		.amdhsa_accum_offset 64
		.amdhsa_reserve_vcc 1
		.amdhsa_reserve_flat_scratch 0
		.amdhsa_float_round_mode_32 0
		.amdhsa_float_round_mode_16_64 0
		.amdhsa_float_denorm_mode_32 3
		.amdhsa_float_denorm_mode_16_64 3
		.amdhsa_dx10_clamp 1
		.amdhsa_ieee_mode 1
		.amdhsa_fp16_overflow 0
		.amdhsa_tg_split 0
		.amdhsa_exception_fp_ieee_invalid_op 0
		.amdhsa_exception_fp_denorm_src 0
		.amdhsa_exception_fp_ieee_div_zero 0
		.amdhsa_exception_fp_ieee_overflow 0
		.amdhsa_exception_fp_ieee_underflow 0
		.amdhsa_exception_fp_ieee_inexact 0
		.amdhsa_exception_int_div_zero 0
	.end_amdhsa_kernel
	.section	.text._Z10pnpoly_optILi16EEvPiPK15HIP_vector_typeIfLj2EES4_i,"axG",@progbits,_Z10pnpoly_optILi16EEvPiPK15HIP_vector_typeIfLj2EES4_i,comdat
.Lfunc_end5:
	.size	_Z10pnpoly_optILi16EEvPiPK15HIP_vector_typeIfLj2EES4_i, .Lfunc_end5-_Z10pnpoly_optILi16EEvPiPK15HIP_vector_typeIfLj2EES4_i
                                        ; -- End function
	.section	.AMDGPU.csdata,"",@progbits
; Kernel info:
; codeLenInByte = 2756
; NumSgprs: 62
; NumVgprs: 63
; NumAgprs: 0
; TotalNumVgprs: 63
; ScratchSize: 0
; MemoryBound: 0
; FloatMode: 240
; IeeeMode: 1
; LDSByteSize: 0 bytes/workgroup (compile time only)
; SGPRBlocks: 7
; VGPRBlocks: 7
; NumSGPRsForWavesPerEU: 62
; NumVGPRsForWavesPerEU: 63
; AccumOffset: 64
; Occupancy: 8
; WaveLimiterHint : 0
; COMPUTE_PGM_RSRC2:SCRATCH_EN: 0
; COMPUTE_PGM_RSRC2:USER_SGPR: 6
; COMPUTE_PGM_RSRC2:TRAP_HANDLER: 0
; COMPUTE_PGM_RSRC2:TGID_X_EN: 1
; COMPUTE_PGM_RSRC2:TGID_Y_EN: 0
; COMPUTE_PGM_RSRC2:TGID_Z_EN: 0
; COMPUTE_PGM_RSRC2:TIDIG_COMP_CNT: 0
; COMPUTE_PGM_RSRC3_GFX90A:ACCUM_OFFSET: 15
; COMPUTE_PGM_RSRC3_GFX90A:TG_SPLIT: 0
	.section	.text._Z10pnpoly_optILi32EEvPiPK15HIP_vector_typeIfLj2EES4_i,"axG",@progbits,_Z10pnpoly_optILi32EEvPiPK15HIP_vector_typeIfLj2EES4_i,comdat
	.protected	_Z10pnpoly_optILi32EEvPiPK15HIP_vector_typeIfLj2EES4_i ; -- Begin function _Z10pnpoly_optILi32EEvPiPK15HIP_vector_typeIfLj2EES4_i
	.globl	_Z10pnpoly_optILi32EEvPiPK15HIP_vector_typeIfLj2EES4_i
	.p2align	8
	.type	_Z10pnpoly_optILi32EEvPiPK15HIP_vector_typeIfLj2EES4_i,@function
_Z10pnpoly_optILi32EEvPiPK15HIP_vector_typeIfLj2EES4_i: ; @_Z10pnpoly_optILi32EEvPiPK15HIP_vector_typeIfLj2EES4_i
; %bb.0:
	s_load_dword s33, s[4:5], 0x18
	v_lshl_or_b32 v0, s6, 13, v0
	s_waitcnt lgkmcnt(0)
	v_cmp_gt_i32_e32 vcc, s33, v0
	s_and_saveexec_b64 s[0:1], vcc
	s_cbranch_execz .LBB6_102
; %bb.1:
	s_load_dwordx2 s[58:59], s[4:5], 0x8
	v_ashrrev_i32_e32 v1, 31, v0
	v_lshlrev_b64 v[2:3], 3, v[0:1]
	s_waitcnt lgkmcnt(0)
	v_mov_b32_e32 v4, s59
	v_add_co_u32_e32 v64, vcc, s58, v2
	v_addc_co_u32_e32 v65, vcc, v4, v3, vcc
	global_load_dwordx2 v[2:3], v[64:65], off
	v_add_u32_e32 v4, 0x100, v0
	v_cmp_gt_i32_e64 s[0:1], s33, v4
                                        ; implicit-def: $vgpr4
	s_and_saveexec_b64 s[2:3], s[0:1]
	s_cbranch_execz .LBB6_3
; %bb.2:
	global_load_dwordx2 v[4:5], v[64:65], off offset:2048
.LBB6_3:
	s_or_b64 exec, exec, s[2:3]
	v_add_u32_e32 v6, 0x200, v0
	v_cmp_gt_i32_e64 s[2:3], s33, v6
                                        ; implicit-def: $vgpr8
	s_and_saveexec_b64 s[6:7], s[2:3]
	s_cbranch_execz .LBB6_5
; %bb.4:
	v_add_co_u32_e32 v6, vcc, 0x1000, v64
	v_addc_co_u32_e32 v7, vcc, 0, v65, vcc
	global_load_dwordx2 v[8:9], v[6:7], off
.LBB6_5:
	s_or_b64 exec, exec, s[6:7]
	v_add_u32_e32 v6, 0x300, v0
	v_cmp_gt_i32_e64 s[64:65], s33, v6
                                        ; implicit-def: $vgpr10
	s_and_saveexec_b64 s[6:7], s[64:65]
	s_cbranch_execz .LBB6_7
; %bb.6:
	v_add_co_u32_e32 v6, vcc, 0x1000, v64
	v_addc_co_u32_e32 v7, vcc, 0, v65, vcc
	global_load_dwordx2 v[10:11], v[6:7], off offset:2048
.LBB6_7:
	s_or_b64 exec, exec, s[6:7]
	v_or_b32_e32 v6, 0x400, v0
	v_cmp_gt_i32_e64 s[6:7], s33, v6
	v_ashrrev_i32_e32 v7, 31, v6
                                        ; implicit-def: $vgpr14
	s_and_saveexec_b64 s[8:9], s[6:7]
	s_cbranch_execz .LBB6_9
; %bb.8:
	v_lshlrev_b64 v[12:13], 3, v[6:7]
	v_mov_b32_e32 v14, s59
	v_add_co_u32_e32 v12, vcc, s58, v12
	v_addc_co_u32_e32 v13, vcc, v14, v13, vcc
	global_load_dwordx2 v[14:15], v[12:13], off
.LBB6_9:
	s_or_b64 exec, exec, s[8:9]
	v_add_u32_e32 v12, 0x500, v0
	v_cmp_gt_i32_e64 s[8:9], s33, v12
                                        ; implicit-def: $vgpr18
	s_and_saveexec_b64 s[10:11], s[8:9]
	s_cbranch_execz .LBB6_11
; %bb.10:
	v_add_co_u32_e32 v12, vcc, 0x2000, v64
	v_addc_co_u32_e32 v13, vcc, 0, v65, vcc
	global_load_dwordx2 v[18:19], v[12:13], off offset:2048
.LBB6_11:
	s_or_b64 exec, exec, s[10:11]
	v_add_u32_e32 v12, 0x600, v0
	v_cmp_gt_i32_e64 s[10:11], s33, v12
                                        ; implicit-def: $vgpr20
	s_and_saveexec_b64 s[12:13], s[10:11]
	s_cbranch_execz .LBB6_13
; %bb.12:
	v_add_co_u32_e32 v12, vcc, 0x3000, v64
	v_addc_co_u32_e32 v13, vcc, 0, v65, vcc
	global_load_dwordx2 v[20:21], v[12:13], off
.LBB6_13:
	s_or_b64 exec, exec, s[12:13]
	v_add_u32_e32 v12, 0x700, v0
	v_cmp_gt_i32_e64 s[12:13], s33, v12
                                        ; implicit-def: $vgpr24
	s_and_saveexec_b64 s[14:15], s[12:13]
	s_cbranch_execz .LBB6_15
; %bb.14:
	v_add_co_u32_e32 v12, vcc, 0x3000, v64
	v_addc_co_u32_e32 v13, vcc, 0, v65, vcc
	global_load_dwordx2 v[24:25], v[12:13], off offset:2048
.LBB6_15:
	s_or_b64 exec, exec, s[14:15]
	v_or_b32_e32 v12, 0x800, v0
	v_cmp_gt_i32_e64 s[14:15], s33, v12
	v_ashrrev_i32_e32 v13, 31, v12
                                        ; implicit-def: $vgpr26
	s_and_saveexec_b64 s[16:17], s[14:15]
	s_cbranch_execz .LBB6_17
; %bb.16:
	v_lshlrev_b64 v[16:17], 3, v[12:13]
	v_mov_b32_e32 v22, s59
	v_add_co_u32_e32 v16, vcc, s58, v16
	v_addc_co_u32_e32 v17, vcc, v22, v17, vcc
	global_load_dwordx2 v[26:27], v[16:17], off
.LBB6_17:
	s_or_b64 exec, exec, s[16:17]
	v_add_u32_e32 v16, 0x900, v0
	v_cmp_gt_i32_e64 s[16:17], s33, v16
                                        ; implicit-def: $vgpr30
	s_and_saveexec_b64 s[18:19], s[16:17]
	s_cbranch_execz .LBB6_19
; %bb.18:
	v_add_co_u32_e32 v16, vcc, 0x4000, v64
	v_addc_co_u32_e32 v17, vcc, 0, v65, vcc
	global_load_dwordx2 v[30:31], v[16:17], off offset:2048
.LBB6_19:
	s_or_b64 exec, exec, s[18:19]
	v_add_u32_e32 v16, 0xa00, v0
	v_cmp_gt_i32_e64 s[18:19], s33, v16
                                        ; implicit-def: $vgpr34
	s_and_saveexec_b64 s[20:21], s[18:19]
	s_cbranch_execz .LBB6_21
; %bb.20:
	v_add_co_u32_e32 v16, vcc, 0x5000, v64
	v_addc_co_u32_e32 v17, vcc, 0, v65, vcc
	global_load_dwordx2 v[34:35], v[16:17], off
.LBB6_21:
	s_or_b64 exec, exec, s[20:21]
	v_add_u32_e32 v16, 0xb00, v0
	v_cmp_gt_i32_e64 s[20:21], s33, v16
                                        ; implicit-def: $vgpr36
	s_and_saveexec_b64 s[22:23], s[20:21]
	s_cbranch_execz .LBB6_23
; %bb.22:
	v_add_co_u32_e32 v16, vcc, 0x5000, v64
	v_addc_co_u32_e32 v17, vcc, 0, v65, vcc
	global_load_dwordx2 v[36:37], v[16:17], off offset:2048
.LBB6_23:
	s_or_b64 exec, exec, s[22:23]
	v_or_b32_e32 v16, 0xc00, v0
	v_cmp_gt_i32_e64 s[22:23], s33, v16
	v_ashrrev_i32_e32 v17, 31, v16
                                        ; implicit-def: $vgpr40
	s_and_saveexec_b64 s[24:25], s[22:23]
	s_cbranch_execz .LBB6_25
; %bb.24:
	v_lshlrev_b64 v[22:23], 3, v[16:17]
	v_mov_b32_e32 v28, s59
	v_add_co_u32_e32 v22, vcc, s58, v22
	v_addc_co_u32_e32 v23, vcc, v28, v23, vcc
	global_load_dwordx2 v[40:41], v[22:23], off
.LBB6_25:
	s_or_b64 exec, exec, s[24:25]
	v_add_u32_e32 v22, 0xd00, v0
	v_cmp_gt_i32_e64 s[24:25], s33, v22
                                        ; implicit-def: $vgpr42
	s_and_saveexec_b64 s[26:27], s[24:25]
	s_cbranch_execz .LBB6_27
; %bb.26:
	v_add_co_u32_e32 v22, vcc, 0x6000, v64
	v_addc_co_u32_e32 v23, vcc, 0, v65, vcc
	global_load_dwordx2 v[42:43], v[22:23], off offset:2048
.LBB6_27:
	s_or_b64 exec, exec, s[26:27]
	v_add_u32_e32 v22, 0xe00, v0
	v_cmp_gt_i32_e64 s[26:27], s33, v22
                                        ; implicit-def: $vgpr44
	s_and_saveexec_b64 s[28:29], s[26:27]
	s_cbranch_execz .LBB6_29
; %bb.28:
	v_add_co_u32_e32 v22, vcc, 0x7000, v64
	v_addc_co_u32_e32 v23, vcc, 0, v65, vcc
	global_load_dwordx2 v[44:45], v[22:23], off
.LBB6_29:
	s_or_b64 exec, exec, s[28:29]
	v_add_u32_e32 v22, 0xf00, v0
	v_cmp_gt_i32_e64 s[28:29], s33, v22
                                        ; implicit-def: $vgpr46
	s_and_saveexec_b64 s[30:31], s[28:29]
	s_cbranch_execz .LBB6_31
; %bb.30:
	v_add_co_u32_e32 v22, vcc, 0x7000, v64
	v_addc_co_u32_e32 v23, vcc, 0, v65, vcc
	global_load_dwordx2 v[46:47], v[22:23], off offset:2048
.LBB6_31:
	s_or_b64 exec, exec, s[30:31]
	v_or_b32_e32 v22, 0x1000, v0
	v_cmp_gt_i32_e64 s[30:31], s33, v22
	v_ashrrev_i32_e32 v23, 31, v22
                                        ; implicit-def: $vgpr48
	s_and_saveexec_b64 s[34:35], s[30:31]
	s_cbranch_execz .LBB6_33
; %bb.32:
	v_lshlrev_b64 v[28:29], 3, v[22:23]
	v_mov_b32_e32 v32, s59
	v_add_co_u32_e32 v28, vcc, s58, v28
	v_addc_co_u32_e32 v29, vcc, v32, v29, vcc
	global_load_dwordx2 v[48:49], v[28:29], off
.LBB6_33:
	s_or_b64 exec, exec, s[34:35]
	v_add_u32_e32 v28, 0x1100, v0
	v_cmp_gt_i32_e64 s[34:35], s33, v28
                                        ; implicit-def: $vgpr50
	s_and_saveexec_b64 s[36:37], s[34:35]
	s_cbranch_execz .LBB6_35
; %bb.34:
	v_add_co_u32_e32 v28, vcc, 0x8000, v64
	v_addc_co_u32_e32 v29, vcc, 0, v65, vcc
	global_load_dwordx2 v[50:51], v[28:29], off offset:2048
.LBB6_35:
	s_or_b64 exec, exec, s[36:37]
	v_add_u32_e32 v28, 0x1200, v0
	v_cmp_gt_i32_e64 s[36:37], s33, v28
                                        ; implicit-def: $vgpr52
	s_and_saveexec_b64 s[38:39], s[36:37]
	s_cbranch_execz .LBB6_37
; %bb.36:
	v_add_co_u32_e32 v28, vcc, 0x9000, v64
	v_addc_co_u32_e32 v29, vcc, 0, v65, vcc
	global_load_dwordx2 v[52:53], v[28:29], off
.LBB6_37:
	s_or_b64 exec, exec, s[38:39]
	v_add_u32_e32 v28, 0x1300, v0
	v_cmp_gt_i32_e64 s[38:39], s33, v28
                                        ; implicit-def: $vgpr54
	s_and_saveexec_b64 s[40:41], s[38:39]
	s_cbranch_execz .LBB6_39
; %bb.38:
	v_add_co_u32_e32 v28, vcc, 0x9000, v64
	v_addc_co_u32_e32 v29, vcc, 0, v65, vcc
	global_load_dwordx2 v[54:55], v[28:29], off offset:2048
.LBB6_39:
	s_or_b64 exec, exec, s[40:41]
	v_or_b32_e32 v28, 0x1400, v0
	v_cmp_gt_i32_e64 s[40:41], s33, v28
	v_ashrrev_i32_e32 v29, 31, v28
                                        ; implicit-def: $vgpr56
	s_and_saveexec_b64 s[42:43], s[40:41]
	s_cbranch_execz .LBB6_41
; %bb.40:
	v_lshlrev_b64 v[32:33], 3, v[28:29]
	v_mov_b32_e32 v38, s59
	v_add_co_u32_e32 v32, vcc, s58, v32
	v_addc_co_u32_e32 v33, vcc, v38, v33, vcc
	global_load_dwordx2 v[56:57], v[32:33], off
.LBB6_41:
	s_or_b64 exec, exec, s[42:43]
	v_add_u32_e32 v32, 0x1500, v0
	v_cmp_gt_i32_e64 s[42:43], s33, v32
                                        ; implicit-def: $vgpr58
	s_and_saveexec_b64 s[44:45], s[42:43]
	s_cbranch_execz .LBB6_43
; %bb.42:
	v_add_co_u32_e32 v32, vcc, 0xa000, v64
	v_addc_co_u32_e32 v33, vcc, 0, v65, vcc
	global_load_dwordx2 v[58:59], v[32:33], off offset:2048
.LBB6_43:
	s_or_b64 exec, exec, s[44:45]
	v_add_u32_e32 v32, 0x1600, v0
	v_cmp_gt_i32_e64 s[44:45], s33, v32
                                        ; implicit-def: $vgpr60
	s_and_saveexec_b64 s[46:47], s[44:45]
	s_cbranch_execz .LBB6_45
; %bb.44:
	v_add_co_u32_e32 v32, vcc, 0xb000, v64
	v_addc_co_u32_e32 v33, vcc, 0, v65, vcc
	global_load_dwordx2 v[60:61], v[32:33], off
.LBB6_45:
	s_or_b64 exec, exec, s[46:47]
	v_add_u32_e32 v32, 0x1700, v0
	v_cmp_gt_i32_e64 s[46:47], s33, v32
                                        ; implicit-def: $vgpr62
	s_and_saveexec_b64 s[48:49], s[46:47]
	s_cbranch_execz .LBB6_47
; %bb.46:
	v_add_co_u32_e32 v32, vcc, 0xb000, v64
	v_addc_co_u32_e32 v33, vcc, 0, v65, vcc
	global_load_dwordx2 v[62:63], v[32:33], off offset:2048
.LBB6_47:
	s_or_b64 exec, exec, s[48:49]
	v_or_b32_e32 v32, 0x1800, v0
	v_cmp_gt_i32_e64 s[48:49], s33, v32
	v_ashrrev_i32_e32 v33, 31, v32
                                        ; implicit-def: $vgpr66
	s_and_saveexec_b64 s[50:51], s[48:49]
	s_cbranch_execz .LBB6_49
; %bb.48:
	v_lshlrev_b64 v[38:39], 3, v[32:33]
	v_mov_b32_e32 v66, s59
	v_add_co_u32_e32 v38, vcc, s58, v38
	v_addc_co_u32_e32 v39, vcc, v66, v39, vcc
	global_load_dwordx2 v[66:67], v[38:39], off
.LBB6_49:
	s_or_b64 exec, exec, s[50:51]
	v_add_u32_e32 v38, 0x1900, v0
	v_cmp_gt_i32_e64 s[50:51], s33, v38
                                        ; implicit-def: $vgpr68
	s_and_saveexec_b64 s[52:53], s[50:51]
	s_cbranch_execz .LBB6_51
; %bb.50:
	v_add_co_u32_e32 v38, vcc, 0xc000, v64
	v_addc_co_u32_e32 v39, vcc, 0, v65, vcc
	global_load_dwordx2 v[68:69], v[38:39], off offset:2048
.LBB6_51:
	s_or_b64 exec, exec, s[52:53]
	v_add_u32_e32 v38, 0x1a00, v0
	v_cmp_gt_i32_e64 s[52:53], s33, v38
                                        ; implicit-def: $vgpr70
	s_and_saveexec_b64 s[54:55], s[52:53]
	s_cbranch_execz .LBB6_53
; %bb.52:
	v_add_co_u32_e32 v38, vcc, 0xd000, v64
	v_addc_co_u32_e32 v39, vcc, 0, v65, vcc
	global_load_dwordx2 v[70:71], v[38:39], off
.LBB6_53:
	s_or_b64 exec, exec, s[54:55]
	v_add_u32_e32 v38, 0x1b00, v0
	v_cmp_gt_i32_e64 s[54:55], s33, v38
                                        ; implicit-def: $vgpr72
	s_and_saveexec_b64 s[56:57], s[54:55]
	s_cbranch_execz .LBB6_55
; %bb.54:
	v_add_co_u32_e32 v38, vcc, 0xd000, v64
	v_addc_co_u32_e32 v39, vcc, 0, v65, vcc
	global_load_dwordx2 v[72:73], v[38:39], off offset:2048
.LBB6_55:
	s_or_b64 exec, exec, s[56:57]
	v_or_b32_e32 v38, 0x1c00, v0
	v_cmp_gt_i32_e64 s[56:57], s33, v38
	v_ashrrev_i32_e32 v39, 31, v38
                                        ; implicit-def: $vgpr74
	s_and_saveexec_b64 s[60:61], s[56:57]
	s_cbranch_execz .LBB6_57
; %bb.56:
	v_lshlrev_b64 v[74:75], 3, v[38:39]
	v_mov_b32_e32 v76, s59
	v_add_co_u32_e32 v74, vcc, s58, v74
	v_addc_co_u32_e32 v75, vcc, v76, v75, vcc
	global_load_dwordx2 v[74:75], v[74:75], off
.LBB6_57:
	s_or_b64 exec, exec, s[60:61]
	v_add_u32_e32 v76, 0x1d00, v0
	v_cmp_gt_i32_e64 s[58:59], s33, v76
                                        ; implicit-def: $vgpr76
	s_and_saveexec_b64 s[60:61], s[58:59]
	s_cbranch_execz .LBB6_59
; %bb.58:
	v_add_co_u32_e32 v76, vcc, 0xe000, v64
	v_addc_co_u32_e32 v77, vcc, 0, v65, vcc
	global_load_dwordx2 v[76:77], v[76:77], off offset:2048
.LBB6_59:
	s_or_b64 exec, exec, s[60:61]
	s_load_dwordx2 s[68:69], s[4:5], 0x10
	v_add_u32_e32 v78, 0x1e00, v0
	v_cmp_gt_i32_e64 s[60:61], s33, v78
                                        ; implicit-def: $vgpr78
	s_and_saveexec_b64 s[62:63], s[60:61]
	s_cbranch_execz .LBB6_61
; %bb.60:
	v_add_co_u32_e32 v78, vcc, 0xf000, v64
	v_addc_co_u32_e32 v79, vcc, 0, v65, vcc
	global_load_dwordx2 v[78:79], v[78:79], off
.LBB6_61:
	s_or_b64 exec, exec, s[62:63]
	s_load_dwordx2 s[66:67], s[4:5], 0x0
	v_add_u32_e32 v80, 0x1f00, v0
	v_cmp_gt_i32_e64 s[62:63], s33, v80
                                        ; implicit-def: $vgpr80
	s_and_saveexec_b64 s[4:5], s[62:63]
	s_cbranch_execz .LBB6_63
; %bb.62:
	v_add_co_u32_e32 v64, vcc, 0xf000, v64
	v_addc_co_u32_e32 v65, vcc, 0, v65, vcc
	global_load_dwordx2 v[80:81], v[64:65], off offset:2048
.LBB6_63:
	s_or_b64 exec, exec, s[4:5]
	s_waitcnt lgkmcnt(0)
	s_load_dwordx2 s[72:73], s[68:69], 0x12b8
	s_mov_b64 s[70:71], 0
	v_mov_b32_e32 v64, 0
	v_mov_b32_e32 v65, 0
	;; [unrolled: 1-line block ×32, first 2 shown]
.LBB6_64:                               ; =>This Inner Loop Header: Depth=1
	s_add_u32 s4, s68, s70
	s_addc_u32 s5, s69, s71
	s_load_dwordx2 s[74:75], s[4:5], 0x0
	s_waitcnt vmcnt(0) lgkmcnt(0)
	v_cmp_ngt_f32_e32 vcc, s73, v3
	v_pk_mov_b32 v[112:113], s[74:75], s[74:75] op_sel:[0,1]
	v_pk_add_f32 v[112:113], s[72:73], v[112:113] neg_lo:[0,1] neg_hi:[0,1]
	v_div_scale_f32 v114, s[76:77], v113, v113, v112
	v_rcp_f32_e32 v115, v114
	v_cmp_gt_f32_e64 s[4:5], s75, v3
	s_xor_b64 s[4:5], s[4:5], vcc
	v_div_scale_f32 v116, vcc, v112, v113, v112
	v_fma_f32 v117, -v114, v115, 1.0
	v_fmac_f32_e32 v115, v117, v115
	v_mul_f32_e32 v117, v116, v115
	v_fma_f32 v118, -v114, v117, v116
	v_fmac_f32_e32 v117, v118, v115
	v_fma_f32 v114, -v114, v117, v116
	v_div_fmas_f32 v114, v114, v115, v117
	v_div_fixup_f32 v112, v114, v113, v112
	s_xor_b64 s[76:77], s[4:5], -1
	s_and_saveexec_b64 s[4:5], s[76:77]
	s_cbranch_execz .LBB6_68
; %bb.65:                               ;   in Loop: Header=BB6_64 Depth=1
	v_subrev_f32_e32 v113, s75, v3
	v_fma_f32 v113, v112, v113, s74
	v_cmp_lt_f32_e32 vcc, v2, v113
	s_and_saveexec_b64 s[76:77], vcc
; %bb.66:                               ;   in Loop: Header=BB6_64 Depth=1
	v_cmp_eq_u32_e32 vcc, 0, v111
	v_cndmask_b32_e64 v111, 0, 1, vcc
; %bb.67:                               ;   in Loop: Header=BB6_64 Depth=1
	s_or_b64 exec, exec, s[76:77]
.LBB6_68:                               ;   in Loop: Header=BB6_64 Depth=1
	s_or_b64 exec, exec, s[4:5]
	v_cmp_gt_f32_e32 vcc, s75, v5
	v_cmp_ngt_f32_e64 s[4:5], s73, v5
	v_subrev_f32_e32 v113, s75, v5
	s_xor_b64 s[4:5], vcc, s[4:5]
	v_fma_f32 v113, v112, v113, s74
	s_xor_b64 s[76:77], s[4:5], -1
	v_cmp_lt_f32_e32 vcc, v4, v113
	v_cmp_eq_u32_e64 s[4:5], 0, v110
	v_cndmask_b32_e64 v113, 0, 1, s[4:5]
	s_and_b64 vcc, s[76:77], vcc
	v_cndmask_b32_e32 v110, v110, v113, vcc
	v_cmp_gt_f32_e32 vcc, s75, v9
	v_cmp_ngt_f32_e64 s[4:5], s73, v9
	v_subrev_f32_e32 v113, s75, v9
	s_xor_b64 s[4:5], vcc, s[4:5]
	v_fma_f32 v113, v112, v113, s74
	s_xor_b64 s[76:77], s[4:5], -1
	v_cmp_lt_f32_e32 vcc, v8, v113
	v_cmp_eq_u32_e64 s[4:5], 0, v109
	v_cndmask_b32_e64 v113, 0, 1, s[4:5]
	s_and_b64 vcc, s[76:77], vcc
	v_cndmask_b32_e32 v109, v109, v113, vcc
	;; [unrolled: 11-line block ×30, first 2 shown]
	v_cmp_gt_f32_e32 vcc, s75, v81
	v_cmp_ngt_f32_e64 s[4:5], s73, v81
	v_subrev_f32_e32 v113, s75, v81
	s_xor_b64 s[4:5], vcc, s[4:5]
	v_fma_f32 v112, v112, v113, s74
	s_xor_b64 s[72:73], s[4:5], -1
	v_cmp_lt_f32_e32 vcc, v80, v112
	s_and_b64 vcc, s[72:73], vcc
	v_cmp_eq_u32_e64 s[4:5], 0, v64
	s_add_u32 s70, s70, 8
	v_cndmask_b32_e64 v112, 0, 1, s[4:5]
	s_addc_u32 s71, s71, 0
	s_cmpk_lg_i32 s70, 0x12c0
	v_cndmask_b32_e32 v64, v64, v112, vcc
	s_cbranch_scc0 .LBB6_70
; %bb.69:                               ;   in Loop: Header=BB6_64 Depth=1
	s_mov_b64 s[72:73], s[74:75]
	s_branch .LBB6_64
.LBB6_70:
	v_lshlrev_b64 v[0:1], 2, v[0:1]
	v_mov_b32_e32 v2, s67
	v_add_co_u32_e32 v0, vcc, s66, v0
	v_addc_co_u32_e32 v1, vcc, v2, v1, vcc
	global_store_dword v[0:1], v111, off
	s_and_saveexec_b64 s[4:5], s[0:1]
	s_cbranch_execnz .LBB6_103
; %bb.71:
	s_or_b64 exec, exec, s[4:5]
	s_and_saveexec_b64 s[0:1], s[2:3]
	s_cbranch_execnz .LBB6_104
.LBB6_72:
	s_or_b64 exec, exec, s[0:1]
	s_and_saveexec_b64 s[0:1], s[64:65]
	s_cbranch_execnz .LBB6_105
.LBB6_73:
	s_or_b64 exec, exec, s[0:1]
	s_and_saveexec_b64 s[0:1], s[6:7]
	s_cbranch_execnz .LBB6_106
.LBB6_74:
	s_or_b64 exec, exec, s[0:1]
	s_and_saveexec_b64 s[0:1], s[8:9]
	s_cbranch_execnz .LBB6_107
.LBB6_75:
	s_or_b64 exec, exec, s[0:1]
	s_and_saveexec_b64 s[0:1], s[10:11]
	s_cbranch_execnz .LBB6_108
.LBB6_76:
	s_or_b64 exec, exec, s[0:1]
	s_and_saveexec_b64 s[0:1], s[12:13]
	s_cbranch_execnz .LBB6_109
.LBB6_77:
	s_or_b64 exec, exec, s[0:1]
	s_and_saveexec_b64 s[0:1], s[14:15]
	s_cbranch_execnz .LBB6_110
.LBB6_78:
	s_or_b64 exec, exec, s[0:1]
	s_and_saveexec_b64 s[0:1], s[16:17]
	s_cbranch_execnz .LBB6_111
.LBB6_79:
	s_or_b64 exec, exec, s[0:1]
	s_and_saveexec_b64 s[0:1], s[18:19]
	s_cbranch_execnz .LBB6_112
.LBB6_80:
	s_or_b64 exec, exec, s[0:1]
	s_and_saveexec_b64 s[0:1], s[20:21]
	s_cbranch_execnz .LBB6_113
.LBB6_81:
	s_or_b64 exec, exec, s[0:1]
	s_and_saveexec_b64 s[0:1], s[22:23]
	s_cbranch_execnz .LBB6_114
.LBB6_82:
	s_or_b64 exec, exec, s[0:1]
	s_and_saveexec_b64 s[0:1], s[24:25]
	s_cbranch_execnz .LBB6_115
.LBB6_83:
	s_or_b64 exec, exec, s[0:1]
	s_and_saveexec_b64 s[0:1], s[26:27]
	s_cbranch_execnz .LBB6_116
.LBB6_84:
	s_or_b64 exec, exec, s[0:1]
	s_and_saveexec_b64 s[0:1], s[28:29]
	s_cbranch_execnz .LBB6_117
.LBB6_85:
	s_or_b64 exec, exec, s[0:1]
	s_and_saveexec_b64 s[0:1], s[30:31]
	s_cbranch_execnz .LBB6_118
.LBB6_86:
	s_or_b64 exec, exec, s[0:1]
	s_and_saveexec_b64 s[0:1], s[34:35]
	s_cbranch_execnz .LBB6_119
.LBB6_87:
	s_or_b64 exec, exec, s[0:1]
	s_and_saveexec_b64 s[0:1], s[36:37]
	s_cbranch_execnz .LBB6_120
.LBB6_88:
	s_or_b64 exec, exec, s[0:1]
	s_and_saveexec_b64 s[0:1], s[38:39]
	s_cbranch_execnz .LBB6_121
.LBB6_89:
	s_or_b64 exec, exec, s[0:1]
	s_and_saveexec_b64 s[0:1], s[40:41]
	s_cbranch_execnz .LBB6_122
.LBB6_90:
	s_or_b64 exec, exec, s[0:1]
	s_and_saveexec_b64 s[0:1], s[42:43]
	s_cbranch_execnz .LBB6_123
.LBB6_91:
	s_or_b64 exec, exec, s[0:1]
	s_and_saveexec_b64 s[0:1], s[44:45]
	s_cbranch_execnz .LBB6_124
.LBB6_92:
	s_or_b64 exec, exec, s[0:1]
	s_and_saveexec_b64 s[0:1], s[46:47]
	s_cbranch_execnz .LBB6_125
.LBB6_93:
	s_or_b64 exec, exec, s[0:1]
	s_and_saveexec_b64 s[0:1], s[48:49]
	s_cbranch_execnz .LBB6_126
.LBB6_94:
	s_or_b64 exec, exec, s[0:1]
	s_and_saveexec_b64 s[0:1], s[50:51]
	s_cbranch_execnz .LBB6_127
.LBB6_95:
	s_or_b64 exec, exec, s[0:1]
	s_and_saveexec_b64 s[0:1], s[52:53]
	s_cbranch_execnz .LBB6_128
.LBB6_96:
	s_or_b64 exec, exec, s[0:1]
	s_and_saveexec_b64 s[0:1], s[54:55]
	s_cbranch_execnz .LBB6_129
.LBB6_97:
	s_or_b64 exec, exec, s[0:1]
	s_and_saveexec_b64 s[0:1], s[56:57]
	s_cbranch_execnz .LBB6_130
.LBB6_98:
	s_or_b64 exec, exec, s[0:1]
	s_and_saveexec_b64 s[0:1], s[58:59]
	s_cbranch_execnz .LBB6_131
.LBB6_99:
	s_or_b64 exec, exec, s[0:1]
	s_and_saveexec_b64 s[0:1], s[60:61]
	s_cbranch_execnz .LBB6_132
.LBB6_100:
	s_or_b64 exec, exec, s[0:1]
	s_and_b64 exec, exec, s[62:63]
	s_cbranch_execz .LBB6_102
.LBB6_101:
	v_add_co_u32_e32 v0, vcc, 0x7000, v0
	v_addc_co_u32_e32 v1, vcc, 0, v1, vcc
	global_store_dword v[0:1], v64, off offset:3072
.LBB6_102:
	s_endpgm
.LBB6_103:
	global_store_dword v[0:1], v110, off offset:1024
	s_or_b64 exec, exec, s[4:5]
	s_and_saveexec_b64 s[0:1], s[2:3]
	s_cbranch_execz .LBB6_72
.LBB6_104:
	global_store_dword v[0:1], v109, off offset:2048
	s_or_b64 exec, exec, s[0:1]
	s_and_saveexec_b64 s[0:1], s[64:65]
	s_cbranch_execz .LBB6_73
.LBB6_105:
	global_store_dword v[0:1], v108, off offset:3072
	s_or_b64 exec, exec, s[0:1]
	s_and_saveexec_b64 s[0:1], s[6:7]
	s_cbranch_execz .LBB6_74
.LBB6_106:
	v_lshlrev_b64 v[2:3], 2, v[6:7]
	v_mov_b32_e32 v4, s67
	v_add_co_u32_e32 v2, vcc, s66, v2
	v_addc_co_u32_e32 v3, vcc, v4, v3, vcc
	global_store_dword v[2:3], v107, off
	s_or_b64 exec, exec, s[0:1]
	s_and_saveexec_b64 s[0:1], s[8:9]
	s_cbranch_execz .LBB6_75
.LBB6_107:
	v_add_co_u32_e32 v2, vcc, 0x1000, v0
	v_addc_co_u32_e32 v3, vcc, 0, v1, vcc
	global_store_dword v[2:3], v106, off offset:1024
	s_or_b64 exec, exec, s[0:1]
	s_and_saveexec_b64 s[0:1], s[10:11]
	s_cbranch_execz .LBB6_76
.LBB6_108:
	v_add_co_u32_e32 v2, vcc, 0x1000, v0
	v_addc_co_u32_e32 v3, vcc, 0, v1, vcc
	global_store_dword v[2:3], v105, off offset:2048
	s_or_b64 exec, exec, s[0:1]
	s_and_saveexec_b64 s[0:1], s[12:13]
	s_cbranch_execz .LBB6_77
.LBB6_109:
	v_add_co_u32_e32 v2, vcc, 0x1000, v0
	v_addc_co_u32_e32 v3, vcc, 0, v1, vcc
	global_store_dword v[2:3], v104, off offset:3072
	s_or_b64 exec, exec, s[0:1]
	s_and_saveexec_b64 s[0:1], s[14:15]
	s_cbranch_execz .LBB6_78
.LBB6_110:
	v_lshlrev_b64 v[2:3], 2, v[12:13]
	v_mov_b32_e32 v4, s67
	v_add_co_u32_e32 v2, vcc, s66, v2
	v_addc_co_u32_e32 v3, vcc, v4, v3, vcc
	global_store_dword v[2:3], v103, off
	s_or_b64 exec, exec, s[0:1]
	s_and_saveexec_b64 s[0:1], s[16:17]
	s_cbranch_execz .LBB6_79
.LBB6_111:
	v_add_co_u32_e32 v2, vcc, 0x2000, v0
	v_addc_co_u32_e32 v3, vcc, 0, v1, vcc
	global_store_dword v[2:3], v102, off offset:1024
	s_or_b64 exec, exec, s[0:1]
	s_and_saveexec_b64 s[0:1], s[18:19]
	s_cbranch_execz .LBB6_80
.LBB6_112:
	v_add_co_u32_e32 v2, vcc, 0x2000, v0
	v_addc_co_u32_e32 v3, vcc, 0, v1, vcc
	global_store_dword v[2:3], v101, off offset:2048
	s_or_b64 exec, exec, s[0:1]
	s_and_saveexec_b64 s[0:1], s[20:21]
	s_cbranch_execz .LBB6_81
.LBB6_113:
	v_add_co_u32_e32 v2, vcc, 0x2000, v0
	v_addc_co_u32_e32 v3, vcc, 0, v1, vcc
	global_store_dword v[2:3], v100, off offset:3072
	s_or_b64 exec, exec, s[0:1]
	s_and_saveexec_b64 s[0:1], s[22:23]
	s_cbranch_execz .LBB6_82
.LBB6_114:
	v_lshlrev_b64 v[2:3], 2, v[16:17]
	v_mov_b32_e32 v4, s67
	v_add_co_u32_e32 v2, vcc, s66, v2
	v_addc_co_u32_e32 v3, vcc, v4, v3, vcc
	global_store_dword v[2:3], v99, off
	s_or_b64 exec, exec, s[0:1]
	s_and_saveexec_b64 s[0:1], s[24:25]
	s_cbranch_execz .LBB6_83
.LBB6_115:
	v_add_co_u32_e32 v2, vcc, 0x3000, v0
	v_addc_co_u32_e32 v3, vcc, 0, v1, vcc
	global_store_dword v[2:3], v98, off offset:1024
	s_or_b64 exec, exec, s[0:1]
	s_and_saveexec_b64 s[0:1], s[26:27]
	s_cbranch_execz .LBB6_84
.LBB6_116:
	v_add_co_u32_e32 v2, vcc, 0x3000, v0
	v_addc_co_u32_e32 v3, vcc, 0, v1, vcc
	global_store_dword v[2:3], v97, off offset:2048
	s_or_b64 exec, exec, s[0:1]
	s_and_saveexec_b64 s[0:1], s[28:29]
	s_cbranch_execz .LBB6_85
.LBB6_117:
	v_add_co_u32_e32 v2, vcc, 0x3000, v0
	v_addc_co_u32_e32 v3, vcc, 0, v1, vcc
	global_store_dword v[2:3], v96, off offset:3072
	s_or_b64 exec, exec, s[0:1]
	s_and_saveexec_b64 s[0:1], s[30:31]
	s_cbranch_execz .LBB6_86
.LBB6_118:
	v_lshlrev_b64 v[2:3], 2, v[22:23]
	v_mov_b32_e32 v4, s67
	v_add_co_u32_e32 v2, vcc, s66, v2
	v_addc_co_u32_e32 v3, vcc, v4, v3, vcc
	global_store_dword v[2:3], v95, off
	s_or_b64 exec, exec, s[0:1]
	s_and_saveexec_b64 s[0:1], s[34:35]
	s_cbranch_execz .LBB6_87
.LBB6_119:
	v_add_co_u32_e32 v2, vcc, 0x4000, v0
	v_addc_co_u32_e32 v3, vcc, 0, v1, vcc
	global_store_dword v[2:3], v94, off offset:1024
	s_or_b64 exec, exec, s[0:1]
	s_and_saveexec_b64 s[0:1], s[36:37]
	s_cbranch_execz .LBB6_88
.LBB6_120:
	v_add_co_u32_e32 v2, vcc, 0x4000, v0
	v_addc_co_u32_e32 v3, vcc, 0, v1, vcc
	global_store_dword v[2:3], v93, off offset:2048
	s_or_b64 exec, exec, s[0:1]
	s_and_saveexec_b64 s[0:1], s[38:39]
	s_cbranch_execz .LBB6_89
.LBB6_121:
	v_add_co_u32_e32 v2, vcc, 0x4000, v0
	v_addc_co_u32_e32 v3, vcc, 0, v1, vcc
	global_store_dword v[2:3], v92, off offset:3072
	s_or_b64 exec, exec, s[0:1]
	s_and_saveexec_b64 s[0:1], s[40:41]
	s_cbranch_execz .LBB6_90
.LBB6_122:
	v_lshlrev_b64 v[2:3], 2, v[28:29]
	v_mov_b32_e32 v4, s67
	v_add_co_u32_e32 v2, vcc, s66, v2
	v_addc_co_u32_e32 v3, vcc, v4, v3, vcc
	global_store_dword v[2:3], v91, off
	s_or_b64 exec, exec, s[0:1]
	s_and_saveexec_b64 s[0:1], s[42:43]
	s_cbranch_execz .LBB6_91
.LBB6_123:
	v_add_co_u32_e32 v2, vcc, 0x5000, v0
	v_addc_co_u32_e32 v3, vcc, 0, v1, vcc
	global_store_dword v[2:3], v90, off offset:1024
	s_or_b64 exec, exec, s[0:1]
	s_and_saveexec_b64 s[0:1], s[44:45]
	s_cbranch_execz .LBB6_92
.LBB6_124:
	v_add_co_u32_e32 v2, vcc, 0x5000, v0
	v_addc_co_u32_e32 v3, vcc, 0, v1, vcc
	global_store_dword v[2:3], v89, off offset:2048
	s_or_b64 exec, exec, s[0:1]
	s_and_saveexec_b64 s[0:1], s[46:47]
	s_cbranch_execz .LBB6_93
.LBB6_125:
	v_add_co_u32_e32 v2, vcc, 0x5000, v0
	v_addc_co_u32_e32 v3, vcc, 0, v1, vcc
	global_store_dword v[2:3], v88, off offset:3072
	s_or_b64 exec, exec, s[0:1]
	s_and_saveexec_b64 s[0:1], s[48:49]
	s_cbranch_execz .LBB6_94
.LBB6_126:
	v_lshlrev_b64 v[2:3], 2, v[32:33]
	v_mov_b32_e32 v4, s67
	v_add_co_u32_e32 v2, vcc, s66, v2
	v_addc_co_u32_e32 v3, vcc, v4, v3, vcc
	global_store_dword v[2:3], v87, off
	s_or_b64 exec, exec, s[0:1]
	s_and_saveexec_b64 s[0:1], s[50:51]
	s_cbranch_execz .LBB6_95
.LBB6_127:
	v_add_co_u32_e32 v2, vcc, 0x6000, v0
	v_addc_co_u32_e32 v3, vcc, 0, v1, vcc
	global_store_dword v[2:3], v86, off offset:1024
	s_or_b64 exec, exec, s[0:1]
	s_and_saveexec_b64 s[0:1], s[52:53]
	s_cbranch_execz .LBB6_96
.LBB6_128:
	v_add_co_u32_e32 v2, vcc, 0x6000, v0
	v_addc_co_u32_e32 v3, vcc, 0, v1, vcc
	global_store_dword v[2:3], v85, off offset:2048
	s_or_b64 exec, exec, s[0:1]
	s_and_saveexec_b64 s[0:1], s[54:55]
	s_cbranch_execz .LBB6_97
.LBB6_129:
	v_add_co_u32_e32 v2, vcc, 0x6000, v0
	v_addc_co_u32_e32 v3, vcc, 0, v1, vcc
	global_store_dword v[2:3], v84, off offset:3072
	s_or_b64 exec, exec, s[0:1]
	s_and_saveexec_b64 s[0:1], s[56:57]
	s_cbranch_execz .LBB6_98
.LBB6_130:
	v_lshlrev_b64 v[2:3], 2, v[38:39]
	v_mov_b32_e32 v4, s67
	v_add_co_u32_e32 v2, vcc, s66, v2
	v_addc_co_u32_e32 v3, vcc, v4, v3, vcc
	global_store_dword v[2:3], v83, off
	s_or_b64 exec, exec, s[0:1]
	s_and_saveexec_b64 s[0:1], s[58:59]
	s_cbranch_execz .LBB6_99
.LBB6_131:
	v_add_co_u32_e32 v2, vcc, 0x7000, v0
	v_addc_co_u32_e32 v3, vcc, 0, v1, vcc
	global_store_dword v[2:3], v82, off offset:1024
	s_or_b64 exec, exec, s[0:1]
	s_and_saveexec_b64 s[0:1], s[60:61]
	s_cbranch_execz .LBB6_100
.LBB6_132:
	v_add_co_u32_e32 v2, vcc, 0x7000, v0
	v_addc_co_u32_e32 v3, vcc, 0, v1, vcc
	global_store_dword v[2:3], v65, off offset:2048
	s_or_b64 exec, exec, s[0:1]
	s_and_b64 exec, exec, s[62:63]
	s_cbranch_execnz .LBB6_101
	s_branch .LBB6_102
	.section	.rodata,"a",@progbits
	.p2align	6, 0x0
	.amdhsa_kernel _Z10pnpoly_optILi32EEvPiPK15HIP_vector_typeIfLj2EES4_i
		.amdhsa_group_segment_fixed_size 0
		.amdhsa_private_segment_fixed_size 0
		.amdhsa_kernarg_size 28
		.amdhsa_user_sgpr_count 6
		.amdhsa_user_sgpr_private_segment_buffer 1
		.amdhsa_user_sgpr_dispatch_ptr 0
		.amdhsa_user_sgpr_queue_ptr 0
		.amdhsa_user_sgpr_kernarg_segment_ptr 1
		.amdhsa_user_sgpr_dispatch_id 0
		.amdhsa_user_sgpr_flat_scratch_init 0
		.amdhsa_user_sgpr_kernarg_preload_length 0
		.amdhsa_user_sgpr_kernarg_preload_offset 0
		.amdhsa_user_sgpr_private_segment_size 0
		.amdhsa_uses_dynamic_stack 0
		.amdhsa_system_sgpr_private_segment_wavefront_offset 0
		.amdhsa_system_sgpr_workgroup_id_x 1
		.amdhsa_system_sgpr_workgroup_id_y 0
		.amdhsa_system_sgpr_workgroup_id_z 0
		.amdhsa_system_sgpr_workgroup_info 0
		.amdhsa_system_vgpr_workitem_id 0
		.amdhsa_next_free_vgpr 119
		.amdhsa_next_free_sgpr 78
		.amdhsa_accum_offset 120
		.amdhsa_reserve_vcc 1
		.amdhsa_reserve_flat_scratch 0
		.amdhsa_float_round_mode_32 0
		.amdhsa_float_round_mode_16_64 0
		.amdhsa_float_denorm_mode_32 3
		.amdhsa_float_denorm_mode_16_64 3
		.amdhsa_dx10_clamp 1
		.amdhsa_ieee_mode 1
		.amdhsa_fp16_overflow 0
		.amdhsa_tg_split 0
		.amdhsa_exception_fp_ieee_invalid_op 0
		.amdhsa_exception_fp_denorm_src 0
		.amdhsa_exception_fp_ieee_div_zero 0
		.amdhsa_exception_fp_ieee_overflow 0
		.amdhsa_exception_fp_ieee_underflow 0
		.amdhsa_exception_fp_ieee_inexact 0
		.amdhsa_exception_int_div_zero 0
	.end_amdhsa_kernel
	.section	.text._Z10pnpoly_optILi32EEvPiPK15HIP_vector_typeIfLj2EES4_i,"axG",@progbits,_Z10pnpoly_optILi32EEvPiPK15HIP_vector_typeIfLj2EES4_i,comdat
.Lfunc_end6:
	.size	_Z10pnpoly_optILi32EEvPiPK15HIP_vector_typeIfLj2EES4_i, .Lfunc_end6-_Z10pnpoly_optILi32EEvPiPK15HIP_vector_typeIfLj2EES4_i
                                        ; -- End function
	.section	.AMDGPU.csdata,"",@progbits
; Kernel info:
; codeLenInByte = 5260
; NumSgprs: 82
; NumVgprs: 119
; NumAgprs: 0
; TotalNumVgprs: 119
; ScratchSize: 0
; MemoryBound: 0
; FloatMode: 240
; IeeeMode: 1
; LDSByteSize: 0 bytes/workgroup (compile time only)
; SGPRBlocks: 10
; VGPRBlocks: 14
; NumSGPRsForWavesPerEU: 82
; NumVGPRsForWavesPerEU: 119
; AccumOffset: 120
; Occupancy: 4
; WaveLimiterHint : 0
; COMPUTE_PGM_RSRC2:SCRATCH_EN: 0
; COMPUTE_PGM_RSRC2:USER_SGPR: 6
; COMPUTE_PGM_RSRC2:TRAP_HANDLER: 0
; COMPUTE_PGM_RSRC2:TGID_X_EN: 1
; COMPUTE_PGM_RSRC2:TGID_Y_EN: 0
; COMPUTE_PGM_RSRC2:TGID_Z_EN: 0
; COMPUTE_PGM_RSRC2:TIDIG_COMP_CNT: 0
; COMPUTE_PGM_RSRC3_GFX90A:ACCUM_OFFSET: 29
; COMPUTE_PGM_RSRC3_GFX90A:TG_SPLIT: 0
	.section	.text._Z10pnpoly_optILi64EEvPiPK15HIP_vector_typeIfLj2EES4_i,"axG",@progbits,_Z10pnpoly_optILi64EEvPiPK15HIP_vector_typeIfLj2EES4_i,comdat
	.protected	_Z10pnpoly_optILi64EEvPiPK15HIP_vector_typeIfLj2EES4_i ; -- Begin function _Z10pnpoly_optILi64EEvPiPK15HIP_vector_typeIfLj2EES4_i
	.globl	_Z10pnpoly_optILi64EEvPiPK15HIP_vector_typeIfLj2EES4_i
	.p2align	8
	.type	_Z10pnpoly_optILi64EEvPiPK15HIP_vector_typeIfLj2EES4_i,@function
_Z10pnpoly_optILi64EEvPiPK15HIP_vector_typeIfLj2EES4_i: ; @_Z10pnpoly_optILi64EEvPiPK15HIP_vector_typeIfLj2EES4_i
; %bb.0:
	s_load_dword s33, s[4:5], 0x18
	s_mov_b64 s[98:99], s[2:3]
	s_mov_b64 s[96:97], s[0:1]
	s_add_u32 s96, s96, s7
	v_lshl_or_b32 v8, s6, 14, v0
	s_addc_u32 s97, s97, 0
	s_waitcnt lgkmcnt(0)
	v_cmp_gt_i32_e32 vcc, s33, v8
	s_and_saveexec_b64 s[0:1], vcc
	s_cbranch_execz .LBB7_220
; %bb.1:
	s_load_dwordx2 s[26:27], s[4:5], 0x8
	v_ashrrev_i32_e32 v9, 31, v8
	v_lshlrev_b64 v[0:1], 3, v[8:9]
	s_waitcnt lgkmcnt(0)
	v_mov_b32_e32 v2, s27
	v_add_co_u32_e32 v4, vcc, s26, v0
	v_addc_co_u32_e32 v5, vcc, v2, v1, vcc
	global_load_dwordx2 v[0:1], v[4:5], off
	s_waitcnt vmcnt(0)
	buffer_store_dword v0, off, s[96:99], 0 ; 4-byte Folded Spill
	s_nop 0
	buffer_store_dword v1, off, s[96:99], 0 offset:4 ; 4-byte Folded Spill
	v_add_u32_e32 v0, 0x100, v8
	v_cmp_gt_i32_e64 s[2:3], s33, v0
                                        ; implicit-def: $vgpr0
	buffer_store_dword v0, off, s[96:99], 0 offset:8 ; 4-byte Folded Spill
	s_nop 0
	buffer_store_dword v1, off, s[96:99], 0 offset:12 ; 4-byte Folded Spill
	s_mov_b64 s[0:1], exec
                                        ; implicit-def: $vgpr127 : SGPR spill to VGPR lane
	v_writelane_b32 v127, s2, 0
	v_writelane_b32 v127, s3, 1
	s_and_b64 s[2:3], s[0:1], s[2:3]
	s_mov_b64 exec, s[2:3]
	s_cbranch_execz .LBB7_3
; %bb.2:
	global_load_dwordx2 v[0:1], v[4:5], off offset:2048
	s_waitcnt vmcnt(0)
	buffer_store_dword v0, off, s[96:99], 0 offset:8 ; 4-byte Folded Spill
	s_nop 0
	buffer_store_dword v1, off, s[96:99], 0 offset:12 ; 4-byte Folded Spill
.LBB7_3:
	s_or_b64 exec, exec, s[0:1]
	v_add_u32_e32 v0, 0x200, v8
	v_cmp_gt_i32_e64 s[2:3], s33, v0
                                        ; implicit-def: $vgpr0
	buffer_store_dword v0, off, s[96:99], 0 offset:16 ; 4-byte Folded Spill
	s_nop 0
	buffer_store_dword v1, off, s[96:99], 0 offset:20 ; 4-byte Folded Spill
	s_mov_b64 s[0:1], exec
	v_writelane_b32 v127, s2, 2
	v_writelane_b32 v127, s3, 3
	s_and_b64 s[2:3], s[0:1], s[2:3]
	s_mov_b64 exec, s[2:3]
	s_cbranch_execz .LBB7_5
; %bb.4:
	v_add_co_u32_e32 v0, vcc, 0x1000, v4
	v_addc_co_u32_e32 v1, vcc, 0, v5, vcc
	global_load_dwordx2 v[0:1], v[0:1], off
	s_waitcnt vmcnt(0)
	buffer_store_dword v0, off, s[96:99], 0 offset:16 ; 4-byte Folded Spill
	s_nop 0
	buffer_store_dword v1, off, s[96:99], 0 offset:20 ; 4-byte Folded Spill
.LBB7_5:
	s_or_b64 exec, exec, s[0:1]
	v_add_u32_e32 v0, 0x300, v8
	v_cmp_gt_i32_e64 s[2:3], s33, v0
                                        ; implicit-def: $vgpr0
	buffer_store_dword v0, off, s[96:99], 0 offset:24 ; 4-byte Folded Spill
	s_nop 0
	buffer_store_dword v1, off, s[96:99], 0 offset:28 ; 4-byte Folded Spill
	s_mov_b64 s[0:1], exec
	v_writelane_b32 v127, s2, 4
	v_writelane_b32 v127, s3, 5
	s_and_b64 s[2:3], s[0:1], s[2:3]
	s_mov_b64 exec, s[2:3]
	s_cbranch_execz .LBB7_7
; %bb.6:
	v_add_co_u32_e32 v0, vcc, 0x1000, v4
	v_addc_co_u32_e32 v1, vcc, 0, v5, vcc
	global_load_dwordx2 v[0:1], v[0:1], off offset:2048
	s_waitcnt vmcnt(0)
	buffer_store_dword v0, off, s[96:99], 0 offset:24 ; 4-byte Folded Spill
	s_nop 0
	buffer_store_dword v1, off, s[96:99], 0 offset:28 ; 4-byte Folded Spill
.LBB7_7:
	s_or_b64 exec, exec, s[0:1]
	v_or_b32_e32 v0, 0x400, v8
	v_ashrrev_i32_e32 v1, 31, v0
	v_cmp_gt_i32_e64 s[2:3], s33, v0
	buffer_store_dword v0, off, s[96:99], 0 offset:296 ; 4-byte Folded Spill
	s_nop 0
	buffer_store_dword v1, off, s[96:99], 0 offset:300 ; 4-byte Folded Spill
                                        ; implicit-def: $vgpr0
	buffer_store_dword v0, off, s[96:99], 0 offset:32 ; 4-byte Folded Spill
	s_nop 0
	buffer_store_dword v1, off, s[96:99], 0 offset:36 ; 4-byte Folded Spill
	s_mov_b64 s[0:1], exec
	v_writelane_b32 v127, s2, 6
	v_writelane_b32 v127, s3, 7
	s_and_b64 s[2:3], s[0:1], s[2:3]
	s_mov_b64 exec, s[2:3]
	s_cbranch_execz .LBB7_9
; %bb.8:
	buffer_load_dword v0, off, s[96:99], 0 offset:296 ; 4-byte Folded Reload
	buffer_load_dword v1, off, s[96:99], 0 offset:300 ; 4-byte Folded Reload
	v_mov_b32_e32 v2, s27
	s_waitcnt vmcnt(0)
	v_lshlrev_b64 v[0:1], 3, v[0:1]
	v_add_co_u32_e32 v0, vcc, s26, v0
	v_addc_co_u32_e32 v1, vcc, v2, v1, vcc
	global_load_dwordx2 v[0:1], v[0:1], off
	s_waitcnt vmcnt(0)
	buffer_store_dword v0, off, s[96:99], 0 offset:32 ; 4-byte Folded Spill
	s_nop 0
	buffer_store_dword v1, off, s[96:99], 0 offset:36 ; 4-byte Folded Spill
.LBB7_9:
	s_or_b64 exec, exec, s[0:1]
	v_add_u32_e32 v0, 0x500, v8
	v_cmp_gt_i32_e64 s[2:3], s33, v0
                                        ; implicit-def: $vgpr0
	buffer_store_dword v0, off, s[96:99], 0 offset:40 ; 4-byte Folded Spill
	s_nop 0
	buffer_store_dword v1, off, s[96:99], 0 offset:44 ; 4-byte Folded Spill
	s_mov_b64 s[0:1], exec
	v_writelane_b32 v127, s2, 8
	v_writelane_b32 v127, s3, 9
	s_and_b64 s[2:3], s[0:1], s[2:3]
	s_mov_b64 exec, s[2:3]
	s_cbranch_execz .LBB7_11
; %bb.10:
	v_add_co_u32_e32 v0, vcc, 0x2000, v4
	v_addc_co_u32_e32 v1, vcc, 0, v5, vcc
	global_load_dwordx2 v[0:1], v[0:1], off offset:2048
	s_waitcnt vmcnt(0)
	buffer_store_dword v0, off, s[96:99], 0 offset:40 ; 4-byte Folded Spill
	s_nop 0
	buffer_store_dword v1, off, s[96:99], 0 offset:44 ; 4-byte Folded Spill
.LBB7_11:
	s_or_b64 exec, exec, s[0:1]
	v_add_u32_e32 v0, 0x600, v8
	v_cmp_gt_i32_e64 s[2:3], s33, v0
                                        ; implicit-def: $vgpr0
	buffer_store_dword v0, off, s[96:99], 0 offset:48 ; 4-byte Folded Spill
	s_nop 0
	buffer_store_dword v1, off, s[96:99], 0 offset:52 ; 4-byte Folded Spill
	s_mov_b64 s[0:1], exec
	v_writelane_b32 v127, s2, 10
	v_writelane_b32 v127, s3, 11
	s_and_b64 s[2:3], s[0:1], s[2:3]
	s_mov_b64 exec, s[2:3]
	s_cbranch_execz .LBB7_13
; %bb.12:
	v_add_co_u32_e32 v0, vcc, 0x3000, v4
	v_addc_co_u32_e32 v1, vcc, 0, v5, vcc
	global_load_dwordx2 v[0:1], v[0:1], off
	s_waitcnt vmcnt(0)
	buffer_store_dword v0, off, s[96:99], 0 offset:48 ; 4-byte Folded Spill
	s_nop 0
	buffer_store_dword v1, off, s[96:99], 0 offset:52 ; 4-byte Folded Spill
.LBB7_13:
	s_or_b64 exec, exec, s[0:1]
	v_add_u32_e32 v0, 0x700, v8
	v_cmp_gt_i32_e64 s[2:3], s33, v0
                                        ; implicit-def: $vgpr0
	buffer_store_dword v0, off, s[96:99], 0 offset:56 ; 4-byte Folded Spill
	s_nop 0
	buffer_store_dword v1, off, s[96:99], 0 offset:60 ; 4-byte Folded Spill
	s_mov_b64 s[0:1], exec
	v_writelane_b32 v127, s2, 12
	v_writelane_b32 v127, s3, 13
	s_and_b64 s[2:3], s[0:1], s[2:3]
	s_mov_b64 exec, s[2:3]
	s_cbranch_execz .LBB7_15
; %bb.14:
	v_add_co_u32_e32 v0, vcc, 0x3000, v4
	v_addc_co_u32_e32 v1, vcc, 0, v5, vcc
	global_load_dwordx2 v[0:1], v[0:1], off offset:2048
	s_waitcnt vmcnt(0)
	buffer_store_dword v0, off, s[96:99], 0 offset:56 ; 4-byte Folded Spill
	s_nop 0
	buffer_store_dword v1, off, s[96:99], 0 offset:60 ; 4-byte Folded Spill
.LBB7_15:
	s_or_b64 exec, exec, s[0:1]
	v_or_b32_e32 v0, 0x800, v8
	v_ashrrev_i32_e32 v1, 31, v0
	v_cmp_gt_i32_e64 s[2:3], s33, v0
	buffer_store_dword v0, off, s[96:99], 0 offset:304 ; 4-byte Folded Spill
	s_nop 0
	buffer_store_dword v1, off, s[96:99], 0 offset:308 ; 4-byte Folded Spill
                                        ; implicit-def: $vgpr0
	buffer_store_dword v0, off, s[96:99], 0 offset:64 ; 4-byte Folded Spill
	s_nop 0
	buffer_store_dword v1, off, s[96:99], 0 offset:68 ; 4-byte Folded Spill
	s_mov_b64 s[0:1], exec
	v_writelane_b32 v127, s2, 14
	v_writelane_b32 v127, s3, 15
	s_and_b64 s[2:3], s[0:1], s[2:3]
	s_mov_b64 exec, s[2:3]
	s_cbranch_execz .LBB7_17
; %bb.16:
	buffer_load_dword v0, off, s[96:99], 0 offset:304 ; 4-byte Folded Reload
	buffer_load_dword v1, off, s[96:99], 0 offset:308 ; 4-byte Folded Reload
	v_mov_b32_e32 v2, s27
	s_waitcnt vmcnt(0)
	v_lshlrev_b64 v[0:1], 3, v[0:1]
	v_add_co_u32_e32 v0, vcc, s26, v0
	v_addc_co_u32_e32 v1, vcc, v2, v1, vcc
	global_load_dwordx2 v[0:1], v[0:1], off
	s_waitcnt vmcnt(0)
	buffer_store_dword v0, off, s[96:99], 0 offset:64 ; 4-byte Folded Spill
	s_nop 0
	buffer_store_dword v1, off, s[96:99], 0 offset:68 ; 4-byte Folded Spill
.LBB7_17:
	s_or_b64 exec, exec, s[0:1]
	v_add_u32_e32 v0, 0x900, v8
	v_cmp_gt_i32_e64 s[2:3], s33, v0
                                        ; implicit-def: $vgpr0
	buffer_store_dword v0, off, s[96:99], 0 offset:72 ; 4-byte Folded Spill
	s_nop 0
	buffer_store_dword v1, off, s[96:99], 0 offset:76 ; 4-byte Folded Spill
	s_mov_b64 s[0:1], exec
	v_writelane_b32 v127, s2, 16
	v_writelane_b32 v127, s3, 17
	s_and_b64 s[2:3], s[0:1], s[2:3]
	s_mov_b64 exec, s[2:3]
	s_cbranch_execz .LBB7_19
; %bb.18:
	v_add_co_u32_e32 v0, vcc, 0x4000, v4
	v_addc_co_u32_e32 v1, vcc, 0, v5, vcc
	global_load_dwordx2 v[0:1], v[0:1], off offset:2048
	s_waitcnt vmcnt(0)
	buffer_store_dword v0, off, s[96:99], 0 offset:72 ; 4-byte Folded Spill
	s_nop 0
	buffer_store_dword v1, off, s[96:99], 0 offset:76 ; 4-byte Folded Spill
.LBB7_19:
	s_or_b64 exec, exec, s[0:1]
	v_add_u32_e32 v0, 0xa00, v8
	v_cmp_gt_i32_e64 s[2:3], s33, v0
                                        ; implicit-def: $vgpr0
	buffer_store_dword v0, off, s[96:99], 0 offset:80 ; 4-byte Folded Spill
	s_nop 0
	buffer_store_dword v1, off, s[96:99], 0 offset:84 ; 4-byte Folded Spill
	s_mov_b64 s[0:1], exec
	v_writelane_b32 v127, s2, 18
	v_writelane_b32 v127, s3, 19
	s_and_b64 s[2:3], s[0:1], s[2:3]
	s_mov_b64 exec, s[2:3]
	s_cbranch_execz .LBB7_21
; %bb.20:
	v_add_co_u32_e32 v0, vcc, 0x5000, v4
	v_addc_co_u32_e32 v1, vcc, 0, v5, vcc
	global_load_dwordx2 v[0:1], v[0:1], off
	s_waitcnt vmcnt(0)
	buffer_store_dword v0, off, s[96:99], 0 offset:80 ; 4-byte Folded Spill
	s_nop 0
	buffer_store_dword v1, off, s[96:99], 0 offset:84 ; 4-byte Folded Spill
.LBB7_21:
	s_or_b64 exec, exec, s[0:1]
	v_add_u32_e32 v0, 0xb00, v8
	v_cmp_gt_i32_e64 s[2:3], s33, v0
                                        ; implicit-def: $vgpr0
	buffer_store_dword v0, off, s[96:99], 0 offset:88 ; 4-byte Folded Spill
	s_nop 0
	buffer_store_dword v1, off, s[96:99], 0 offset:92 ; 4-byte Folded Spill
	s_mov_b64 s[0:1], exec
	v_writelane_b32 v127, s2, 20
	v_writelane_b32 v127, s3, 21
	s_and_b64 s[2:3], s[0:1], s[2:3]
	s_mov_b64 exec, s[2:3]
	s_cbranch_execz .LBB7_23
; %bb.22:
	v_add_co_u32_e32 v0, vcc, 0x5000, v4
	v_addc_co_u32_e32 v1, vcc, 0, v5, vcc
	global_load_dwordx2 v[0:1], v[0:1], off offset:2048
	s_waitcnt vmcnt(0)
	buffer_store_dword v0, off, s[96:99], 0 offset:88 ; 4-byte Folded Spill
	s_nop 0
	buffer_store_dword v1, off, s[96:99], 0 offset:92 ; 4-byte Folded Spill
.LBB7_23:
	s_or_b64 exec, exec, s[0:1]
	v_or_b32_e32 v0, 0xc00, v8
	v_ashrrev_i32_e32 v1, 31, v0
	v_cmp_gt_i32_e64 s[2:3], s33, v0
	buffer_store_dword v0, off, s[96:99], 0 offset:312 ; 4-byte Folded Spill
	s_nop 0
	buffer_store_dword v1, off, s[96:99], 0 offset:316 ; 4-byte Folded Spill
                                        ; implicit-def: $vgpr0
	buffer_store_dword v0, off, s[96:99], 0 offset:96 ; 4-byte Folded Spill
	s_nop 0
	buffer_store_dword v1, off, s[96:99], 0 offset:100 ; 4-byte Folded Spill
	s_mov_b64 s[0:1], exec
	v_writelane_b32 v127, s2, 22
	v_writelane_b32 v127, s3, 23
	s_and_b64 s[2:3], s[0:1], s[2:3]
	s_mov_b64 exec, s[2:3]
	s_cbranch_execz .LBB7_25
; %bb.24:
	buffer_load_dword v0, off, s[96:99], 0 offset:312 ; 4-byte Folded Reload
	buffer_load_dword v1, off, s[96:99], 0 offset:316 ; 4-byte Folded Reload
	v_mov_b32_e32 v2, s27
	s_waitcnt vmcnt(0)
	v_lshlrev_b64 v[0:1], 3, v[0:1]
	v_add_co_u32_e32 v0, vcc, s26, v0
	v_addc_co_u32_e32 v1, vcc, v2, v1, vcc
	global_load_dwordx2 v[0:1], v[0:1], off
	s_waitcnt vmcnt(0)
	buffer_store_dword v0, off, s[96:99], 0 offset:96 ; 4-byte Folded Spill
	s_nop 0
	buffer_store_dword v1, off, s[96:99], 0 offset:100 ; 4-byte Folded Spill
.LBB7_25:
	s_or_b64 exec, exec, s[0:1]
	v_add_u32_e32 v0, 0xd00, v8
	v_cmp_gt_i32_e64 s[2:3], s33, v0
                                        ; implicit-def: $vgpr0
	buffer_store_dword v0, off, s[96:99], 0 offset:104 ; 4-byte Folded Spill
	s_nop 0
	buffer_store_dword v1, off, s[96:99], 0 offset:108 ; 4-byte Folded Spill
	s_mov_b64 s[0:1], exec
	v_writelane_b32 v127, s2, 24
	v_writelane_b32 v127, s3, 25
	s_and_b64 s[2:3], s[0:1], s[2:3]
	s_mov_b64 exec, s[2:3]
	s_cbranch_execz .LBB7_27
; %bb.26:
	v_add_co_u32_e32 v0, vcc, 0x6000, v4
	v_addc_co_u32_e32 v1, vcc, 0, v5, vcc
	global_load_dwordx2 v[0:1], v[0:1], off offset:2048
	s_waitcnt vmcnt(0)
	buffer_store_dword v0, off, s[96:99], 0 offset:104 ; 4-byte Folded Spill
	s_nop 0
	buffer_store_dword v1, off, s[96:99], 0 offset:108 ; 4-byte Folded Spill
.LBB7_27:
	s_or_b64 exec, exec, s[0:1]
	v_add_u32_e32 v0, 0xe00, v8
	v_cmp_gt_i32_e64 s[2:3], s33, v0
                                        ; implicit-def: $vgpr0
	buffer_store_dword v0, off, s[96:99], 0 offset:112 ; 4-byte Folded Spill
	s_nop 0
	buffer_store_dword v1, off, s[96:99], 0 offset:116 ; 4-byte Folded Spill
	s_mov_b64 s[0:1], exec
	v_writelane_b32 v127, s2, 26
	v_writelane_b32 v127, s3, 27
	s_and_b64 s[2:3], s[0:1], s[2:3]
	s_mov_b64 exec, s[2:3]
	s_cbranch_execz .LBB7_29
; %bb.28:
	v_add_co_u32_e32 v0, vcc, 0x7000, v4
	v_addc_co_u32_e32 v1, vcc, 0, v5, vcc
	global_load_dwordx2 v[0:1], v[0:1], off
	s_waitcnt vmcnt(0)
	buffer_store_dword v0, off, s[96:99], 0 offset:112 ; 4-byte Folded Spill
	s_nop 0
	buffer_store_dword v1, off, s[96:99], 0 offset:116 ; 4-byte Folded Spill
.LBB7_29:
	s_or_b64 exec, exec, s[0:1]
	v_add_u32_e32 v0, 0xf00, v8
	v_cmp_gt_i32_e64 s[2:3], s33, v0
                                        ; implicit-def: $vgpr0
	buffer_store_dword v0, off, s[96:99], 0 offset:120 ; 4-byte Folded Spill
	s_nop 0
	buffer_store_dword v1, off, s[96:99], 0 offset:124 ; 4-byte Folded Spill
	s_mov_b64 s[0:1], exec
	v_writelane_b32 v127, s2, 28
	v_writelane_b32 v127, s3, 29
	s_and_b64 s[2:3], s[0:1], s[2:3]
	s_mov_b64 exec, s[2:3]
	s_cbranch_execz .LBB7_31
; %bb.30:
	v_add_co_u32_e32 v0, vcc, 0x7000, v4
	v_addc_co_u32_e32 v1, vcc, 0, v5, vcc
	global_load_dwordx2 v[0:1], v[0:1], off offset:2048
	s_waitcnt vmcnt(0)
	buffer_store_dword v0, off, s[96:99], 0 offset:120 ; 4-byte Folded Spill
	s_nop 0
	buffer_store_dword v1, off, s[96:99], 0 offset:124 ; 4-byte Folded Spill
.LBB7_31:
	s_or_b64 exec, exec, s[0:1]
	v_or_b32_e32 v0, 0x1000, v8
	v_ashrrev_i32_e32 v1, 31, v0
	v_cmp_gt_i32_e64 s[2:3], s33, v0
	buffer_store_dword v0, off, s[96:99], 0 offset:320 ; 4-byte Folded Spill
	s_nop 0
	buffer_store_dword v1, off, s[96:99], 0 offset:324 ; 4-byte Folded Spill
                                        ; implicit-def: $vgpr0
	buffer_store_dword v0, off, s[96:99], 0 offset:128 ; 4-byte Folded Spill
	s_nop 0
	buffer_store_dword v1, off, s[96:99], 0 offset:132 ; 4-byte Folded Spill
	s_mov_b64 s[0:1], exec
	v_writelane_b32 v127, s2, 30
	v_writelane_b32 v127, s3, 31
	s_and_b64 s[2:3], s[0:1], s[2:3]
	s_mov_b64 exec, s[2:3]
	s_cbranch_execz .LBB7_33
; %bb.32:
	buffer_load_dword v0, off, s[96:99], 0 offset:320 ; 4-byte Folded Reload
	buffer_load_dword v1, off, s[96:99], 0 offset:324 ; 4-byte Folded Reload
	v_mov_b32_e32 v2, s27
	s_waitcnt vmcnt(0)
	v_lshlrev_b64 v[0:1], 3, v[0:1]
	v_add_co_u32_e32 v0, vcc, s26, v0
	v_addc_co_u32_e32 v1, vcc, v2, v1, vcc
	global_load_dwordx2 v[0:1], v[0:1], off
	s_waitcnt vmcnt(0)
	buffer_store_dword v0, off, s[96:99], 0 offset:128 ; 4-byte Folded Spill
	s_nop 0
	buffer_store_dword v1, off, s[96:99], 0 offset:132 ; 4-byte Folded Spill
.LBB7_33:
	s_or_b64 exec, exec, s[0:1]
	v_add_u32_e32 v0, 0x1100, v8
	v_cmp_gt_i32_e64 s[2:3], s33, v0
                                        ; implicit-def: $vgpr0
	buffer_store_dword v0, off, s[96:99], 0 offset:136 ; 4-byte Folded Spill
	s_nop 0
	buffer_store_dword v1, off, s[96:99], 0 offset:140 ; 4-byte Folded Spill
	s_mov_b64 s[0:1], exec
	v_writelane_b32 v127, s2, 32
	v_writelane_b32 v127, s3, 33
	s_and_b64 s[2:3], s[0:1], s[2:3]
	s_mov_b64 exec, s[2:3]
	s_cbranch_execz .LBB7_35
; %bb.34:
	v_add_co_u32_e32 v0, vcc, 0x8000, v4
	v_addc_co_u32_e32 v1, vcc, 0, v5, vcc
	global_load_dwordx2 v[0:1], v[0:1], off offset:2048
	s_waitcnt vmcnt(0)
	buffer_store_dword v0, off, s[96:99], 0 offset:136 ; 4-byte Folded Spill
	s_nop 0
	buffer_store_dword v1, off, s[96:99], 0 offset:140 ; 4-byte Folded Spill
.LBB7_35:
	s_or_b64 exec, exec, s[0:1]
	v_add_u32_e32 v0, 0x1200, v8
	v_cmp_gt_i32_e64 s[2:3], s33, v0
                                        ; implicit-def: $vgpr0
	buffer_store_dword v0, off, s[96:99], 0 offset:144 ; 4-byte Folded Spill
	s_nop 0
	buffer_store_dword v1, off, s[96:99], 0 offset:148 ; 4-byte Folded Spill
	s_mov_b64 s[0:1], exec
	v_writelane_b32 v127, s2, 34
	v_writelane_b32 v127, s3, 35
	s_and_b64 s[2:3], s[0:1], s[2:3]
	s_mov_b64 exec, s[2:3]
	s_cbranch_execz .LBB7_37
; %bb.36:
	v_add_co_u32_e32 v0, vcc, 0x9000, v4
	v_addc_co_u32_e32 v1, vcc, 0, v5, vcc
	global_load_dwordx2 v[0:1], v[0:1], off
	s_waitcnt vmcnt(0)
	buffer_store_dword v0, off, s[96:99], 0 offset:144 ; 4-byte Folded Spill
	s_nop 0
	buffer_store_dword v1, off, s[96:99], 0 offset:148 ; 4-byte Folded Spill
.LBB7_37:
	s_or_b64 exec, exec, s[0:1]
	v_add_u32_e32 v0, 0x1300, v8
	v_cmp_gt_i32_e64 s[2:3], s33, v0
                                        ; implicit-def: $vgpr0
	buffer_store_dword v0, off, s[96:99], 0 offset:152 ; 4-byte Folded Spill
	s_nop 0
	buffer_store_dword v1, off, s[96:99], 0 offset:156 ; 4-byte Folded Spill
	s_mov_b64 s[0:1], exec
	v_writelane_b32 v127, s2, 36
	v_writelane_b32 v127, s3, 37
	s_and_b64 s[2:3], s[0:1], s[2:3]
	s_mov_b64 exec, s[2:3]
	s_cbranch_execz .LBB7_39
; %bb.38:
	v_add_co_u32_e32 v0, vcc, 0x9000, v4
	v_addc_co_u32_e32 v1, vcc, 0, v5, vcc
	global_load_dwordx2 v[0:1], v[0:1], off offset:2048
	s_waitcnt vmcnt(0)
	buffer_store_dword v0, off, s[96:99], 0 offset:152 ; 4-byte Folded Spill
	s_nop 0
	buffer_store_dword v1, off, s[96:99], 0 offset:156 ; 4-byte Folded Spill
.LBB7_39:
	s_or_b64 exec, exec, s[0:1]
	v_or_b32_e32 v0, 0x1400, v8
	v_ashrrev_i32_e32 v1, 31, v0
	v_cmp_gt_i32_e64 s[2:3], s33, v0
	buffer_store_dword v0, off, s[96:99], 0 offset:328 ; 4-byte Folded Spill
	s_nop 0
	buffer_store_dword v1, off, s[96:99], 0 offset:332 ; 4-byte Folded Spill
                                        ; implicit-def: $vgpr0
	buffer_store_dword v0, off, s[96:99], 0 offset:160 ; 4-byte Folded Spill
	s_nop 0
	buffer_store_dword v1, off, s[96:99], 0 offset:164 ; 4-byte Folded Spill
	s_mov_b64 s[0:1], exec
	v_writelane_b32 v127, s2, 38
	v_writelane_b32 v127, s3, 39
	s_and_b64 s[2:3], s[0:1], s[2:3]
	s_mov_b64 exec, s[2:3]
	s_cbranch_execz .LBB7_41
; %bb.40:
	buffer_load_dword v0, off, s[96:99], 0 offset:328 ; 4-byte Folded Reload
	buffer_load_dword v1, off, s[96:99], 0 offset:332 ; 4-byte Folded Reload
	v_mov_b32_e32 v2, s27
	s_waitcnt vmcnt(0)
	v_lshlrev_b64 v[0:1], 3, v[0:1]
	v_add_co_u32_e32 v0, vcc, s26, v0
	v_addc_co_u32_e32 v1, vcc, v2, v1, vcc
	global_load_dwordx2 v[0:1], v[0:1], off
	s_waitcnt vmcnt(0)
	buffer_store_dword v0, off, s[96:99], 0 offset:160 ; 4-byte Folded Spill
	s_nop 0
	buffer_store_dword v1, off, s[96:99], 0 offset:164 ; 4-byte Folded Spill
.LBB7_41:
	s_or_b64 exec, exec, s[0:1]
	v_add_u32_e32 v0, 0x1500, v8
	v_cmp_gt_i32_e64 s[2:3], s33, v0
                                        ; implicit-def: $vgpr0
	buffer_store_dword v0, off, s[96:99], 0 offset:168 ; 4-byte Folded Spill
	s_nop 0
	buffer_store_dword v1, off, s[96:99], 0 offset:172 ; 4-byte Folded Spill
	s_mov_b64 s[0:1], exec
	v_writelane_b32 v127, s2, 40
	v_writelane_b32 v127, s3, 41
	s_and_b64 s[2:3], s[0:1], s[2:3]
	s_mov_b64 exec, s[2:3]
	s_cbranch_execz .LBB7_43
; %bb.42:
	v_add_co_u32_e32 v0, vcc, 0xa000, v4
	v_addc_co_u32_e32 v1, vcc, 0, v5, vcc
	global_load_dwordx2 v[0:1], v[0:1], off offset:2048
	s_waitcnt vmcnt(0)
	buffer_store_dword v0, off, s[96:99], 0 offset:168 ; 4-byte Folded Spill
	s_nop 0
	buffer_store_dword v1, off, s[96:99], 0 offset:172 ; 4-byte Folded Spill
.LBB7_43:
	s_or_b64 exec, exec, s[0:1]
	v_add_u32_e32 v0, 0x1600, v8
	v_cmp_gt_i32_e64 s[2:3], s33, v0
                                        ; implicit-def: $vgpr0
	buffer_store_dword v0, off, s[96:99], 0 offset:176 ; 4-byte Folded Spill
	s_nop 0
	buffer_store_dword v1, off, s[96:99], 0 offset:180 ; 4-byte Folded Spill
	s_mov_b64 s[0:1], exec
	v_writelane_b32 v127, s2, 42
	v_writelane_b32 v127, s3, 43
	s_and_b64 s[2:3], s[0:1], s[2:3]
	s_mov_b64 exec, s[2:3]
	s_cbranch_execz .LBB7_45
; %bb.44:
	v_add_co_u32_e32 v0, vcc, 0xb000, v4
	v_addc_co_u32_e32 v1, vcc, 0, v5, vcc
	global_load_dwordx2 v[0:1], v[0:1], off
	s_waitcnt vmcnt(0)
	buffer_store_dword v0, off, s[96:99], 0 offset:176 ; 4-byte Folded Spill
	s_nop 0
	buffer_store_dword v1, off, s[96:99], 0 offset:180 ; 4-byte Folded Spill
.LBB7_45:
	s_or_b64 exec, exec, s[0:1]
	v_add_u32_e32 v0, 0x1700, v8
	v_cmp_gt_i32_e64 s[2:3], s33, v0
                                        ; implicit-def: $vgpr0
	buffer_store_dword v0, off, s[96:99], 0 offset:184 ; 4-byte Folded Spill
	s_nop 0
	buffer_store_dword v1, off, s[96:99], 0 offset:188 ; 4-byte Folded Spill
	s_mov_b64 s[0:1], exec
	v_writelane_b32 v127, s2, 44
	v_writelane_b32 v127, s3, 45
	s_and_b64 s[2:3], s[0:1], s[2:3]
	s_mov_b64 exec, s[2:3]
	s_cbranch_execz .LBB7_47
; %bb.46:
	v_add_co_u32_e32 v0, vcc, 0xb000, v4
	v_addc_co_u32_e32 v1, vcc, 0, v5, vcc
	global_load_dwordx2 v[0:1], v[0:1], off offset:2048
	s_waitcnt vmcnt(0)
	buffer_store_dword v0, off, s[96:99], 0 offset:184 ; 4-byte Folded Spill
	s_nop 0
	buffer_store_dword v1, off, s[96:99], 0 offset:188 ; 4-byte Folded Spill
.LBB7_47:
	s_or_b64 exec, exec, s[0:1]
	v_or_b32_e32 v0, 0x1800, v8
	v_cmp_gt_i32_e64 s[48:49], s33, v0
	v_ashrrev_i32_e32 v1, 31, v0
	buffer_store_dword v0, off, s[96:99], 0 offset:336 ; 4-byte Folded Spill
	s_nop 0
	buffer_store_dword v1, off, s[96:99], 0 offset:340 ; 4-byte Folded Spill
                                        ; implicit-def: $vgpr0
	buffer_store_dword v0, off, s[96:99], 0 offset:192 ; 4-byte Folded Spill
	s_nop 0
	buffer_store_dword v1, off, s[96:99], 0 offset:196 ; 4-byte Folded Spill
	s_and_saveexec_b64 s[0:1], s[48:49]
	s_cbranch_execz .LBB7_49
; %bb.48:
	buffer_load_dword v0, off, s[96:99], 0 offset:336 ; 4-byte Folded Reload
	buffer_load_dword v1, off, s[96:99], 0 offset:340 ; 4-byte Folded Reload
	v_mov_b32_e32 v2, s27
	s_waitcnt vmcnt(0)
	v_lshlrev_b64 v[0:1], 3, v[0:1]
	v_add_co_u32_e32 v0, vcc, s26, v0
	v_addc_co_u32_e32 v1, vcc, v2, v1, vcc
	global_load_dwordx2 v[0:1], v[0:1], off
	s_waitcnt vmcnt(0)
	buffer_store_dword v0, off, s[96:99], 0 offset:192 ; 4-byte Folded Spill
	s_nop 0
	buffer_store_dword v1, off, s[96:99], 0 offset:196 ; 4-byte Folded Spill
.LBB7_49:
	s_or_b64 exec, exec, s[0:1]
	v_add_u32_e32 v0, 0x1900, v8
	v_cmp_gt_i32_e64 s[50:51], s33, v0
                                        ; implicit-def: $vgpr0
	buffer_store_dword v0, off, s[96:99], 0 offset:200 ; 4-byte Folded Spill
	s_nop 0
	buffer_store_dword v1, off, s[96:99], 0 offset:204 ; 4-byte Folded Spill
	s_and_saveexec_b64 s[0:1], s[50:51]
	s_cbranch_execz .LBB7_51
; %bb.50:
	v_add_co_u32_e32 v0, vcc, 0xc000, v4
	v_addc_co_u32_e32 v1, vcc, 0, v5, vcc
	global_load_dwordx2 v[0:1], v[0:1], off offset:2048
	s_waitcnt vmcnt(0)
	buffer_store_dword v0, off, s[96:99], 0 offset:200 ; 4-byte Folded Spill
	s_nop 0
	buffer_store_dword v1, off, s[96:99], 0 offset:204 ; 4-byte Folded Spill
.LBB7_51:
	s_or_b64 exec, exec, s[0:1]
	v_add_u32_e32 v0, 0x1a00, v8
	v_cmp_gt_i32_e64 s[52:53], s33, v0
                                        ; implicit-def: $vgpr0
	buffer_store_dword v0, off, s[96:99], 0 offset:208 ; 4-byte Folded Spill
	s_nop 0
	buffer_store_dword v1, off, s[96:99], 0 offset:212 ; 4-byte Folded Spill
	s_and_saveexec_b64 s[0:1], s[52:53]
	s_cbranch_execz .LBB7_53
; %bb.52:
	v_add_co_u32_e32 v0, vcc, 0xd000, v4
	v_addc_co_u32_e32 v1, vcc, 0, v5, vcc
	global_load_dwordx2 v[0:1], v[0:1], off
	s_waitcnt vmcnt(0)
	buffer_store_dword v0, off, s[96:99], 0 offset:208 ; 4-byte Folded Spill
	s_nop 0
	buffer_store_dword v1, off, s[96:99], 0 offset:212 ; 4-byte Folded Spill
.LBB7_53:
	s_or_b64 exec, exec, s[0:1]
	v_add_u32_e32 v0, 0x1b00, v8
	v_cmp_gt_i32_e64 s[54:55], s33, v0
                                        ; implicit-def: $vgpr0
	buffer_store_dword v0, off, s[96:99], 0 offset:216 ; 4-byte Folded Spill
	s_nop 0
	buffer_store_dword v1, off, s[96:99], 0 offset:220 ; 4-byte Folded Spill
	s_and_saveexec_b64 s[0:1], s[54:55]
	s_cbranch_execz .LBB7_55
; %bb.54:
	v_add_co_u32_e32 v0, vcc, 0xd000, v4
	v_addc_co_u32_e32 v1, vcc, 0, v5, vcc
	global_load_dwordx2 v[0:1], v[0:1], off offset:2048
	s_waitcnt vmcnt(0)
	buffer_store_dword v0, off, s[96:99], 0 offset:216 ; 4-byte Folded Spill
	s_nop 0
	buffer_store_dword v1, off, s[96:99], 0 offset:220 ; 4-byte Folded Spill
.LBB7_55:
	s_or_b64 exec, exec, s[0:1]
	v_or_b32_e32 v0, 0x1c00, v8
	v_cmp_gt_i32_e64 s[56:57], s33, v0
	v_ashrrev_i32_e32 v1, 31, v0
	buffer_store_dword v0, off, s[96:99], 0 offset:344 ; 4-byte Folded Spill
	s_nop 0
	buffer_store_dword v1, off, s[96:99], 0 offset:348 ; 4-byte Folded Spill
                                        ; implicit-def: $vgpr0
	buffer_store_dword v0, off, s[96:99], 0 offset:224 ; 4-byte Folded Spill
	s_nop 0
	buffer_store_dword v1, off, s[96:99], 0 offset:228 ; 4-byte Folded Spill
	s_and_saveexec_b64 s[0:1], s[56:57]
	s_cbranch_execz .LBB7_57
; %bb.56:
	buffer_load_dword v0, off, s[96:99], 0 offset:344 ; 4-byte Folded Reload
	buffer_load_dword v1, off, s[96:99], 0 offset:348 ; 4-byte Folded Reload
	v_mov_b32_e32 v2, s27
	s_waitcnt vmcnt(0)
	v_lshlrev_b64 v[0:1], 3, v[0:1]
	v_add_co_u32_e32 v0, vcc, s26, v0
	v_addc_co_u32_e32 v1, vcc, v2, v1, vcc
	global_load_dwordx2 v[0:1], v[0:1], off
	s_waitcnt vmcnt(0)
	buffer_store_dword v0, off, s[96:99], 0 offset:224 ; 4-byte Folded Spill
	s_nop 0
	buffer_store_dword v1, off, s[96:99], 0 offset:228 ; 4-byte Folded Spill
.LBB7_57:
	s_or_b64 exec, exec, s[0:1]
	v_add_u32_e32 v0, 0x1d00, v8
	v_cmp_gt_i32_e64 s[58:59], s33, v0
                                        ; implicit-def: $vgpr0
	buffer_store_dword v0, off, s[96:99], 0 offset:232 ; 4-byte Folded Spill
	s_nop 0
	buffer_store_dword v1, off, s[96:99], 0 offset:236 ; 4-byte Folded Spill
	s_and_saveexec_b64 s[0:1], s[58:59]
	s_cbranch_execz .LBB7_59
; %bb.58:
	v_add_co_u32_e32 v0, vcc, 0xe000, v4
	v_addc_co_u32_e32 v1, vcc, 0, v5, vcc
	global_load_dwordx2 v[0:1], v[0:1], off offset:2048
	s_waitcnt vmcnt(0)
	buffer_store_dword v0, off, s[96:99], 0 offset:232 ; 4-byte Folded Spill
	s_nop 0
	buffer_store_dword v1, off, s[96:99], 0 offset:236 ; 4-byte Folded Spill
.LBB7_59:
	s_or_b64 exec, exec, s[0:1]
	v_add_u32_e32 v0, 0x1e00, v8
	v_cmp_gt_i32_e64 s[60:61], s33, v0
                                        ; implicit-def: $vgpr0
	buffer_store_dword v0, off, s[96:99], 0 offset:240 ; 4-byte Folded Spill
	s_nop 0
	buffer_store_dword v1, off, s[96:99], 0 offset:244 ; 4-byte Folded Spill
	s_and_saveexec_b64 s[0:1], s[60:61]
	s_cbranch_execz .LBB7_61
; %bb.60:
	v_add_co_u32_e32 v0, vcc, 0xf000, v4
	v_addc_co_u32_e32 v1, vcc, 0, v5, vcc
	global_load_dwordx2 v[0:1], v[0:1], off
	s_waitcnt vmcnt(0)
	buffer_store_dword v0, off, s[96:99], 0 offset:240 ; 4-byte Folded Spill
	s_nop 0
	buffer_store_dword v1, off, s[96:99], 0 offset:244 ; 4-byte Folded Spill
.LBB7_61:
	s_or_b64 exec, exec, s[0:1]
	v_add_u32_e32 v0, 0x1f00, v8
	v_cmp_gt_i32_e64 s[62:63], s33, v0
                                        ; implicit-def: $vgpr0
	buffer_store_dword v0, off, s[96:99], 0 offset:248 ; 4-byte Folded Spill
	s_nop 0
	buffer_store_dword v1, off, s[96:99], 0 offset:252 ; 4-byte Folded Spill
	s_and_saveexec_b64 s[0:1], s[62:63]
	s_cbranch_execz .LBB7_63
; %bb.62:
	v_add_co_u32_e32 v0, vcc, 0xf000, v4
	v_addc_co_u32_e32 v1, vcc, 0, v5, vcc
	global_load_dwordx2 v[0:1], v[0:1], off offset:2048
	s_waitcnt vmcnt(0)
	buffer_store_dword v0, off, s[96:99], 0 offset:248 ; 4-byte Folded Spill
	s_nop 0
	buffer_store_dword v1, off, s[96:99], 0 offset:252 ; 4-byte Folded Spill
.LBB7_63:
	s_or_b64 exec, exec, s[0:1]
	v_or_b32_e32 v0, 0x2000, v8
	v_cmp_gt_i32_e64 s[64:65], s33, v0
	v_ashrrev_i32_e32 v1, 31, v0
	buffer_store_dword v0, off, s[96:99], 0 offset:352 ; 4-byte Folded Spill
	s_nop 0
	buffer_store_dword v1, off, s[96:99], 0 offset:356 ; 4-byte Folded Spill
                                        ; implicit-def: $vgpr0
	buffer_store_dword v0, off, s[96:99], 0 offset:256 ; 4-byte Folded Spill
	s_nop 0
	buffer_store_dword v1, off, s[96:99], 0 offset:260 ; 4-byte Folded Spill
	s_and_saveexec_b64 s[0:1], s[64:65]
	s_cbranch_execz .LBB7_65
; %bb.64:
	buffer_load_dword v0, off, s[96:99], 0 offset:352 ; 4-byte Folded Reload
	buffer_load_dword v1, off, s[96:99], 0 offset:356 ; 4-byte Folded Reload
	v_mov_b32_e32 v2, s27
	s_waitcnt vmcnt(0)
	v_lshlrev_b64 v[0:1], 3, v[0:1]
	v_add_co_u32_e32 v0, vcc, s26, v0
	v_addc_co_u32_e32 v1, vcc, v2, v1, vcc
	global_load_dwordx2 v[0:1], v[0:1], off
	s_waitcnt vmcnt(0)
	buffer_store_dword v0, off, s[96:99], 0 offset:256 ; 4-byte Folded Spill
	s_nop 0
	buffer_store_dword v1, off, s[96:99], 0 offset:260 ; 4-byte Folded Spill
.LBB7_65:
	s_or_b64 exec, exec, s[0:1]
	v_add_u32_e32 v0, 0x2100, v8
	v_cmp_gt_i32_e64 s[66:67], s33, v0
                                        ; implicit-def: $vgpr0
	buffer_store_dword v0, off, s[96:99], 0 offset:264 ; 4-byte Folded Spill
	s_nop 0
	buffer_store_dword v1, off, s[96:99], 0 offset:268 ; 4-byte Folded Spill
	s_and_saveexec_b64 s[0:1], s[66:67]
	s_cbranch_execz .LBB7_67
; %bb.66:
	v_add_co_u32_e32 v0, vcc, 0x10000, v4
	v_addc_co_u32_e32 v1, vcc, 0, v5, vcc
	global_load_dwordx2 v[0:1], v[0:1], off offset:2048
	s_waitcnt vmcnt(0)
	buffer_store_dword v0, off, s[96:99], 0 offset:264 ; 4-byte Folded Spill
	s_nop 0
	buffer_store_dword v1, off, s[96:99], 0 offset:268 ; 4-byte Folded Spill
.LBB7_67:
	s_or_b64 exec, exec, s[0:1]
	v_add_u32_e32 v0, 0x2200, v8
	v_cmp_gt_i32_e64 s[68:69], s33, v0
                                        ; implicit-def: $vgpr0
	buffer_store_dword v0, off, s[96:99], 0 offset:272 ; 4-byte Folded Spill
	s_nop 0
	buffer_store_dword v1, off, s[96:99], 0 offset:276 ; 4-byte Folded Spill
	s_and_saveexec_b64 s[0:1], s[68:69]
	s_cbranch_execz .LBB7_69
; %bb.68:
	v_add_co_u32_e32 v0, vcc, 0x11000, v4
	v_addc_co_u32_e32 v1, vcc, 0, v5, vcc
	global_load_dwordx2 v[0:1], v[0:1], off
	s_waitcnt vmcnt(0)
	buffer_store_dword v0, off, s[96:99], 0 offset:272 ; 4-byte Folded Spill
	s_nop 0
	buffer_store_dword v1, off, s[96:99], 0 offset:276 ; 4-byte Folded Spill
.LBB7_69:
	s_or_b64 exec, exec, s[0:1]
	v_add_u32_e32 v0, 0x2300, v8
	v_cmp_gt_i32_e64 s[70:71], s33, v0
                                        ; implicit-def: $vgpr0
	buffer_store_dword v0, off, s[96:99], 0 offset:280 ; 4-byte Folded Spill
	s_nop 0
	buffer_store_dword v1, off, s[96:99], 0 offset:284 ; 4-byte Folded Spill
	s_and_saveexec_b64 s[0:1], s[70:71]
	s_cbranch_execz .LBB7_71
; %bb.70:
	v_add_co_u32_e32 v0, vcc, 0x11000, v4
	v_addc_co_u32_e32 v1, vcc, 0, v5, vcc
	global_load_dwordx2 v[0:1], v[0:1], off offset:2048
	s_waitcnt vmcnt(0)
	buffer_store_dword v0, off, s[96:99], 0 offset:280 ; 4-byte Folded Spill
	s_nop 0
	buffer_store_dword v1, off, s[96:99], 0 offset:284 ; 4-byte Folded Spill
.LBB7_71:
	s_or_b64 exec, exec, s[0:1]
	v_or_b32_e32 v0, 0x2400, v8
	v_cmp_gt_i32_e64 s[72:73], s33, v0
	v_ashrrev_i32_e32 v1, 31, v0
	buffer_store_dword v0, off, s[96:99], 0 offset:360 ; 4-byte Folded Spill
	s_nop 0
	buffer_store_dword v1, off, s[96:99], 0 offset:364 ; 4-byte Folded Spill
                                        ; implicit-def: $vgpr104
	s_and_saveexec_b64 s[0:1], s[72:73]
	s_cbranch_execz .LBB7_73
; %bb.72:
	buffer_load_dword v0, off, s[96:99], 0 offset:360 ; 4-byte Folded Reload
	buffer_load_dword v1, off, s[96:99], 0 offset:364 ; 4-byte Folded Reload
	v_mov_b32_e32 v2, s27
	s_waitcnt vmcnt(0)
	v_lshlrev_b64 v[0:1], 3, v[0:1]
	v_add_co_u32_e32 v0, vcc, s26, v0
	v_addc_co_u32_e32 v1, vcc, v2, v1, vcc
	global_load_dwordx2 v[104:105], v[0:1], off
.LBB7_73:
	s_or_b64 exec, exec, s[0:1]
	v_add_u32_e32 v0, 0x2500, v8
	v_cmp_gt_i32_e64 s[74:75], s33, v0
                                        ; implicit-def: $vgpr106
	s_and_saveexec_b64 s[0:1], s[74:75]
	s_cbranch_execz .LBB7_75
; %bb.74:
	v_add_co_u32_e32 v0, vcc, 0x12000, v4
	v_addc_co_u32_e32 v1, vcc, 0, v5, vcc
	global_load_dwordx2 v[106:107], v[0:1], off offset:2048
.LBB7_75:
	s_or_b64 exec, exec, s[0:1]
	v_add_u32_e32 v0, 0x2600, v8
	v_cmp_gt_i32_e64 s[76:77], s33, v0
                                        ; implicit-def: $vgpr108
	s_and_saveexec_b64 s[0:1], s[76:77]
	s_cbranch_execz .LBB7_77
; %bb.76:
	v_add_co_u32_e32 v0, vcc, 0x13000, v4
	v_addc_co_u32_e32 v1, vcc, 0, v5, vcc
	global_load_dwordx2 v[108:109], v[0:1], off
.LBB7_77:
	s_or_b64 exec, exec, s[0:1]
	v_add_u32_e32 v0, 0x2700, v8
	v_cmp_gt_i32_e64 s[78:79], s33, v0
                                        ; implicit-def: $vgpr110
	s_and_saveexec_b64 s[0:1], s[78:79]
	s_cbranch_execz .LBB7_79
; %bb.78:
	v_add_co_u32_e32 v0, vcc, 0x13000, v4
	v_addc_co_u32_e32 v1, vcc, 0, v5, vcc
	global_load_dwordx2 v[110:111], v[0:1], off offset:2048
.LBB7_79:
	s_or_b64 exec, exec, s[0:1]
	v_or_b32_e32 v0, 0x2800, v8
	v_cmp_gt_i32_e64 s[80:81], s33, v0
	v_ashrrev_i32_e32 v1, 31, v0
	buffer_store_dword v0, off, s[96:99], 0 offset:368 ; 4-byte Folded Spill
	s_nop 0
	buffer_store_dword v1, off, s[96:99], 0 offset:372 ; 4-byte Folded Spill
                                        ; implicit-def: $vgpr112
	s_and_saveexec_b64 s[0:1], s[80:81]
	s_cbranch_execz .LBB7_81
; %bb.80:
	buffer_load_dword v0, off, s[96:99], 0 offset:368 ; 4-byte Folded Reload
	buffer_load_dword v1, off, s[96:99], 0 offset:372 ; 4-byte Folded Reload
	v_mov_b32_e32 v2, s27
	s_waitcnt vmcnt(0)
	v_lshlrev_b64 v[0:1], 3, v[0:1]
	v_add_co_u32_e32 v0, vcc, s26, v0
	v_addc_co_u32_e32 v1, vcc, v2, v1, vcc
	global_load_dwordx2 v[112:113], v[0:1], off
.LBB7_81:
	s_or_b64 exec, exec, s[0:1]
	v_add_u32_e32 v0, 0x2900, v8
	v_cmp_gt_i32_e64 s[82:83], s33, v0
                                        ; implicit-def: $vgpr114
	s_and_saveexec_b64 s[0:1], s[82:83]
	s_cbranch_execz .LBB7_83
; %bb.82:
	v_add_co_u32_e32 v0, vcc, 0x14000, v4
	v_addc_co_u32_e32 v1, vcc, 0, v5, vcc
	global_load_dwordx2 v[114:115], v[0:1], off offset:2048
.LBB7_83:
	s_or_b64 exec, exec, s[0:1]
	v_add_u32_e32 v0, 0x2a00, v8
	v_cmp_gt_i32_e64 s[84:85], s33, v0
                                        ; implicit-def: $vgpr116
	s_and_saveexec_b64 s[0:1], s[84:85]
	s_cbranch_execz .LBB7_85
; %bb.84:
	v_add_co_u32_e32 v0, vcc, 0x15000, v4
	v_addc_co_u32_e32 v1, vcc, 0, v5, vcc
	global_load_dwordx2 v[116:117], v[0:1], off
.LBB7_85:
	s_or_b64 exec, exec, s[0:1]
	v_add_u32_e32 v0, 0x2b00, v8
	v_cmp_gt_i32_e64 s[86:87], s33, v0
                                        ; implicit-def: $vgpr118
	s_and_saveexec_b64 s[0:1], s[86:87]
	s_cbranch_execz .LBB7_87
; %bb.86:
	v_add_co_u32_e32 v0, vcc, 0x15000, v4
	v_addc_co_u32_e32 v1, vcc, 0, v5, vcc
	global_load_dwordx2 v[118:119], v[0:1], off offset:2048
.LBB7_87:
	s_or_b64 exec, exec, s[0:1]
	v_or_b32_e32 v0, 0x2c00, v8
	v_cmp_gt_i32_e64 s[88:89], s33, v0
	v_ashrrev_i32_e32 v1, 31, v0
	buffer_store_dword v0, off, s[96:99], 0 offset:376 ; 4-byte Folded Spill
	s_nop 0
	buffer_store_dword v1, off, s[96:99], 0 offset:380 ; 4-byte Folded Spill
                                        ; implicit-def: $vgpr120
	s_and_saveexec_b64 s[0:1], s[88:89]
	s_cbranch_execz .LBB7_89
; %bb.88:
	buffer_load_dword v0, off, s[96:99], 0 offset:376 ; 4-byte Folded Reload
	buffer_load_dword v1, off, s[96:99], 0 offset:380 ; 4-byte Folded Reload
	v_mov_b32_e32 v2, s27
	s_waitcnt vmcnt(0)
	v_lshlrev_b64 v[0:1], 3, v[0:1]
	v_add_co_u32_e32 v0, vcc, s26, v0
	v_addc_co_u32_e32 v1, vcc, v2, v1, vcc
	global_load_dwordx2 v[120:121], v[0:1], off
.LBB7_89:
	s_or_b64 exec, exec, s[0:1]
	v_add_u32_e32 v0, 0x2d00, v8
	v_cmp_gt_i32_e64 s[90:91], s33, v0
                                        ; implicit-def: $vgpr122
	s_and_saveexec_b64 s[0:1], s[90:91]
	s_cbranch_execz .LBB7_91
; %bb.90:
	v_add_co_u32_e32 v0, vcc, 0x16000, v4
	v_addc_co_u32_e32 v1, vcc, 0, v5, vcc
	global_load_dwordx2 v[122:123], v[0:1], off offset:2048
.LBB7_91:
	s_or_b64 exec, exec, s[0:1]
	v_add_u32_e32 v0, 0x2e00, v8
	v_cmp_gt_i32_e64 s[92:93], s33, v0
                                        ; implicit-def: $vgpr124
	s_and_saveexec_b64 s[0:1], s[92:93]
	s_cbranch_execz .LBB7_93
; %bb.92:
	v_add_co_u32_e32 v0, vcc, 0x17000, v4
	v_addc_co_u32_e32 v1, vcc, 0, v5, vcc
	global_load_dwordx2 v[124:125], v[0:1], off
.LBB7_93:
	s_or_b64 exec, exec, s[0:1]
	v_add_u32_e32 v0, 0x2f00, v8
	v_cmp_gt_i32_e64 s[94:95], s33, v0
                                        ; implicit-def: $vgpr6
	s_and_saveexec_b64 s[0:1], s[94:95]
	s_cbranch_execz .LBB7_95
; %bb.94:
	v_add_co_u32_e32 v0, vcc, 0x17000, v4
	v_addc_co_u32_e32 v1, vcc, 0, v5, vcc
	global_load_dwordx2 v[6:7], v[0:1], off offset:2048
.LBB7_95:
	s_or_b64 exec, exec, s[0:1]
	v_or_b32_e32 v0, 0x3000, v8
	v_cmp_gt_i32_e64 s[0:1], s33, v0
	v_ashrrev_i32_e32 v1, 31, v0
	buffer_store_dword v0, off, s[96:99], 0 offset:384 ; 4-byte Folded Spill
	s_nop 0
	buffer_store_dword v1, off, s[96:99], 0 offset:388 ; 4-byte Folded Spill
                                        ; implicit-def: $vgpr12
	s_and_saveexec_b64 s[2:3], s[0:1]
	s_cbranch_execz .LBB7_97
; %bb.96:
	buffer_load_dword v0, off, s[96:99], 0 offset:384 ; 4-byte Folded Reload
	buffer_load_dword v1, off, s[96:99], 0 offset:388 ; 4-byte Folded Reload
	v_mov_b32_e32 v2, s27
	s_waitcnt vmcnt(0)
	v_lshlrev_b64 v[0:1], 3, v[0:1]
	v_add_co_u32_e32 v0, vcc, s26, v0
	v_addc_co_u32_e32 v1, vcc, v2, v1, vcc
	global_load_dwordx2 v[12:13], v[0:1], off
.LBB7_97:
	s_or_b64 exec, exec, s[2:3]
	v_add_u32_e32 v0, 0x3100, v8
	v_cmp_gt_i32_e64 s[2:3], s33, v0
                                        ; implicit-def: $vgpr16
	s_and_saveexec_b64 s[6:7], s[2:3]
	s_cbranch_execz .LBB7_99
; %bb.98:
	v_add_co_u32_e32 v0, vcc, 0x18000, v4
	v_addc_co_u32_e32 v1, vcc, 0, v5, vcc
	global_load_dwordx2 v[16:17], v[0:1], off offset:2048
.LBB7_99:
	s_or_b64 exec, exec, s[6:7]
	v_add_u32_e32 v0, 0x3200, v8
	v_cmp_gt_i32_e64 s[34:35], s33, v0
                                        ; implicit-def: $vgpr20
	s_and_saveexec_b64 s[6:7], s[34:35]
	s_cbranch_execz .LBB7_101
; %bb.100:
	v_add_co_u32_e32 v0, vcc, 0x19000, v4
	v_addc_co_u32_e32 v1, vcc, 0, v5, vcc
	global_load_dwordx2 v[20:21], v[0:1], off
.LBB7_101:
	s_or_b64 exec, exec, s[6:7]
	v_add_u32_e32 v0, 0x3300, v8
	v_cmp_gt_i32_e64 s[6:7], s33, v0
                                        ; implicit-def: $vgpr24
	s_and_saveexec_b64 s[8:9], s[6:7]
	s_cbranch_execz .LBB7_103
; %bb.102:
	v_add_co_u32_e32 v0, vcc, 0x19000, v4
	v_addc_co_u32_e32 v1, vcc, 0, v5, vcc
	global_load_dwordx2 v[24:25], v[0:1], off offset:2048
.LBB7_103:
	s_or_b64 exec, exec, s[8:9]
	v_or_b32_e32 v0, 0x3400, v8
	v_cmp_gt_i32_e64 s[8:9], s33, v0
	v_ashrrev_i32_e32 v1, 31, v0
	buffer_store_dword v0, off, s[96:99], 0 offset:392 ; 4-byte Folded Spill
	s_nop 0
	buffer_store_dword v1, off, s[96:99], 0 offset:396 ; 4-byte Folded Spill
                                        ; implicit-def: $vgpr30
	s_and_saveexec_b64 s[10:11], s[8:9]
	s_cbranch_execz .LBB7_105
; %bb.104:
	buffer_load_dword v0, off, s[96:99], 0 offset:392 ; 4-byte Folded Reload
	buffer_load_dword v1, off, s[96:99], 0 offset:396 ; 4-byte Folded Reload
	v_mov_b32_e32 v2, s27
	s_waitcnt vmcnt(0)
	v_lshlrev_b64 v[0:1], 3, v[0:1]
	v_add_co_u32_e32 v0, vcc, s26, v0
	v_addc_co_u32_e32 v1, vcc, v2, v1, vcc
	global_load_dwordx2 v[30:31], v[0:1], off
.LBB7_105:
	s_or_b64 exec, exec, s[10:11]
	v_add_u32_e32 v0, 0x3500, v8
	v_cmp_gt_i32_e64 s[10:11], s33, v0
                                        ; implicit-def: $vgpr34
	s_and_saveexec_b64 s[12:13], s[10:11]
	s_cbranch_execz .LBB7_107
; %bb.106:
	v_add_co_u32_e32 v0, vcc, 0x1a000, v4
	v_addc_co_u32_e32 v1, vcc, 0, v5, vcc
	global_load_dwordx2 v[34:35], v[0:1], off offset:2048
.LBB7_107:
	s_or_b64 exec, exec, s[12:13]
	v_add_u32_e32 v0, 0x3600, v8
	v_cmp_gt_i32_e64 s[12:13], s33, v0
                                        ; implicit-def: $vgpr40
	s_and_saveexec_b64 s[14:15], s[12:13]
	s_cbranch_execz .LBB7_109
; %bb.108:
	v_add_co_u32_e32 v0, vcc, 0x1b000, v4
	v_addc_co_u32_e32 v1, vcc, 0, v5, vcc
	global_load_dwordx2 v[40:41], v[0:1], off
.LBB7_109:
	s_or_b64 exec, exec, s[14:15]
	v_add_u32_e32 v0, 0x3700, v8
	v_cmp_gt_i32_e64 s[14:15], s33, v0
                                        ; implicit-def: $vgpr44
	s_and_saveexec_b64 s[16:17], s[14:15]
	s_cbranch_execz .LBB7_111
; %bb.110:
	v_add_co_u32_e32 v0, vcc, 0x1b000, v4
	v_addc_co_u32_e32 v1, vcc, 0, v5, vcc
	global_load_dwordx2 v[44:45], v[0:1], off offset:2048
.LBB7_111:
	s_or_b64 exec, exec, s[16:17]
	v_or_b32_e32 v0, 0x3800, v8
	v_cmp_gt_i32_e64 s[16:17], s33, v0
	v_ashrrev_i32_e32 v1, 31, v0
	buffer_store_dword v0, off, s[96:99], 0 offset:400 ; 4-byte Folded Spill
	s_nop 0
	buffer_store_dword v1, off, s[96:99], 0 offset:404 ; 4-byte Folded Spill
                                        ; implicit-def: $vgpr50
	s_and_saveexec_b64 s[18:19], s[16:17]
	s_cbranch_execz .LBB7_113
; %bb.112:
	buffer_load_dword v0, off, s[96:99], 0 offset:400 ; 4-byte Folded Reload
	buffer_load_dword v1, off, s[96:99], 0 offset:404 ; 4-byte Folded Reload
	v_mov_b32_e32 v2, s27
	s_waitcnt vmcnt(0)
	v_lshlrev_b64 v[0:1], 3, v[0:1]
	v_add_co_u32_e32 v0, vcc, s26, v0
	v_addc_co_u32_e32 v1, vcc, v2, v1, vcc
	global_load_dwordx2 v[50:51], v[0:1], off
.LBB7_113:
	s_or_b64 exec, exec, s[18:19]
	v_add_u32_e32 v0, 0x3900, v8
	v_cmp_gt_i32_e64 s[18:19], s33, v0
                                        ; implicit-def: $vgpr54
	s_and_saveexec_b64 s[20:21], s[18:19]
	s_cbranch_execz .LBB7_115
; %bb.114:
	v_add_co_u32_e32 v0, vcc, 0x1c000, v4
	v_addc_co_u32_e32 v1, vcc, 0, v5, vcc
	global_load_dwordx2 v[54:55], v[0:1], off offset:2048
.LBB7_115:
	s_or_b64 exec, exec, s[20:21]
	v_add_u32_e32 v0, 0x3a00, v8
	v_cmp_gt_i32_e64 s[20:21], s33, v0
                                        ; implicit-def: $vgpr60
	s_and_saveexec_b64 s[22:23], s[20:21]
	s_cbranch_execz .LBB7_117
; %bb.116:
	v_add_co_u32_e32 v0, vcc, 0x1d000, v4
	v_addc_co_u32_e32 v1, vcc, 0, v5, vcc
	global_load_dwordx2 v[60:61], v[0:1], off
.LBB7_117:
	s_or_b64 exec, exec, s[22:23]
	v_add_u32_e32 v0, 0x3b00, v8
	v_cmp_gt_i32_e64 s[22:23], s33, v0
                                        ; implicit-def: $vgpr66
	s_and_saveexec_b64 s[24:25], s[22:23]
	s_cbranch_execz .LBB7_119
; %bb.118:
	v_add_co_u32_e32 v0, vcc, 0x1d000, v4
	v_addc_co_u32_e32 v1, vcc, 0, v5, vcc
	global_load_dwordx2 v[66:67], v[0:1], off offset:2048
.LBB7_119:
	s_or_b64 exec, exec, s[24:25]
	v_or_b32_e32 v0, 0x3c00, v8
	v_cmp_gt_i32_e64 s[24:25], s33, v0
	v_ashrrev_i32_e32 v1, 31, v0
	buffer_store_dword v0, off, s[96:99], 0 offset:408 ; 4-byte Folded Spill
	s_nop 0
	buffer_store_dword v1, off, s[96:99], 0 offset:412 ; 4-byte Folded Spill
                                        ; implicit-def: $vgpr70
	s_and_saveexec_b64 s[28:29], s[24:25]
	s_cbranch_execz .LBB7_121
; %bb.120:
	buffer_load_dword v0, off, s[96:99], 0 offset:408 ; 4-byte Folded Reload
	buffer_load_dword v1, off, s[96:99], 0 offset:412 ; 4-byte Folded Reload
	v_mov_b32_e32 v2, s27
	s_waitcnt vmcnt(0)
	v_lshlrev_b64 v[0:1], 3, v[0:1]
	v_add_co_u32_e32 v0, vcc, s26, v0
	v_addc_co_u32_e32 v1, vcc, v2, v1, vcc
	global_load_dwordx2 v[70:71], v[0:1], off
.LBB7_121:
	s_or_b64 exec, exec, s[28:29]
	v_add_u32_e32 v0, 0x3d00, v8
	v_cmp_gt_i32_e64 s[26:27], s33, v0
                                        ; implicit-def: $vgpr76
	s_and_saveexec_b64 s[28:29], s[26:27]
	s_cbranch_execz .LBB7_123
; %bb.122:
	v_add_co_u32_e32 v0, vcc, 0x1e000, v4
	v_addc_co_u32_e32 v1, vcc, 0, v5, vcc
	global_load_dwordx2 v[76:77], v[0:1], off offset:2048
.LBB7_123:
	s_or_b64 exec, exec, s[28:29]
	s_load_dwordx2 s[38:39], s[4:5], 0x10
	v_add_u32_e32 v0, 0x3e00, v8
	v_cmp_gt_i32_e64 s[28:29], s33, v0
                                        ; implicit-def: $vgpr0
	s_and_saveexec_b64 s[30:31], s[28:29]
	s_cbranch_execz .LBB7_125
; %bb.124:
	v_add_co_u32_e32 v0, vcc, 0x1f000, v4
	v_addc_co_u32_e32 v1, vcc, 0, v5, vcc
	global_load_dwordx2 v[0:1], v[0:1], off
.LBB7_125:
	s_or_b64 exec, exec, s[30:31]
	s_load_dwordx2 s[36:37], s[4:5], 0x0
	v_add_u32_e32 v2, 0x3f00, v8
	v_cmp_gt_i32_e64 s[30:31], s33, v2
                                        ; implicit-def: $vgpr2
	s_and_saveexec_b64 s[4:5], s[30:31]
	s_cbranch_execz .LBB7_127
; %bb.126:
	v_add_co_u32_e32 v2, vcc, 0x1f000, v4
	v_addc_co_u32_e32 v3, vcc, 0, v5, vcc
	global_load_dwordx2 v[2:3], v[2:3], off offset:2048
.LBB7_127:
	s_or_b64 exec, exec, s[4:5]
	buffer_store_dword v8, off, s[96:99], 0 offset:288 ; 4-byte Folded Spill
	s_nop 0
	buffer_store_dword v9, off, s[96:99], 0 offset:292 ; 4-byte Folded Spill
	s_waitcnt lgkmcnt(0)
	s_load_dwordx2 s[44:45], s[38:39], 0x12b8
	s_mov_b64 s[40:41], 0
	v_mov_b32_e32 v4, 0
	v_mov_b32_e32 v5, 0
	;; [unrolled: 1-line block ×64, first 2 shown]
.LBB7_128:                              ; =>This Inner Loop Header: Depth=1
	s_add_u32 s4, s38, s40
	s_addc_u32 s5, s39, s41
	s_load_dwordx2 s[42:43], s[4:5], 0x0
	buffer_load_dword v98, off, s[96:99], 0 ; 4-byte Folded Reload
	buffer_load_dword v99, off, s[96:99], 0 offset:4 ; 4-byte Folded Reload
	s_waitcnt lgkmcnt(0)
	v_pk_mov_b32 v[96:97], s[42:43], s[42:43] op_sel:[0,1]
	v_pk_add_f32 v[96:97], s[44:45], v[96:97] neg_lo:[0,1] neg_hi:[0,1]
	s_waitcnt vmcnt(1)
	v_div_scale_f32 v98, s[46:47], v97, v97, v96
	s_waitcnt vmcnt(0)
	v_cmp_ngt_f32_e32 vcc, s45, v99
	v_cmp_gt_f32_e64 s[4:5], s43, v99
	v_rcp_f32_e32 v99, v98
	s_xor_b64 s[4:5], s[4:5], vcc
	v_div_scale_f32 v100, vcc, v96, v97, v96
	v_fma_f32 v101, -v98, v99, 1.0
	v_fmac_f32_e32 v99, v101, v99
	v_mul_f32_e32 v101, v100, v99
	v_fma_f32 v102, -v98, v101, v100
	v_fmac_f32_e32 v101, v102, v99
	v_fma_f32 v98, -v98, v101, v100
	v_div_fmas_f32 v98, v98, v99, v101
	v_div_fixup_f32 v96, v98, v97, v96
	s_xor_b64 s[46:47], s[4:5], -1
	s_mov_b64 s[4:5], exec
	buffer_load_dword v98, off, s[96:99], 0 offset:288 ; 4-byte Folded Reload
	buffer_load_dword v99, off, s[96:99], 0 offset:292 ; 4-byte Folded Reload
	s_and_b64 s[46:47], s[4:5], s[46:47]
	s_mov_b64 exec, s[46:47]
	s_cbranch_execz .LBB7_132
; %bb.129:                              ;   in Loop: Header=BB7_128 Depth=1
	buffer_load_dword v100, off, s[96:99], 0 ; 4-byte Folded Reload
	buffer_load_dword v101, off, s[96:99], 0 offset:4 ; 4-byte Folded Reload
	s_waitcnt vmcnt(0)
	v_subrev_f32_e32 v97, s43, v101
	v_fma_f32 v97, v96, v97, s42
	v_cmp_lt_f32_e32 vcc, v100, v97
	s_and_saveexec_b64 s[46:47], vcc
; %bb.130:                              ;   in Loop: Header=BB7_128 Depth=1
	v_cmp_eq_u32_e32 vcc, 0, v103
	v_cndmask_b32_e64 v103, 0, 1, vcc
; %bb.131:                              ;   in Loop: Header=BB7_128 Depth=1
	s_or_b64 exec, exec, s[46:47]
.LBB7_132:                              ;   in Loop: Header=BB7_128 Depth=1
	s_or_b64 exec, exec, s[4:5]
	buffer_load_dword v100, off, s[96:99], 0 offset:8 ; 4-byte Folded Reload
	buffer_load_dword v101, off, s[96:99], 0 offset:12 ; 4-byte Folded Reload
	s_waitcnt vmcnt(0)
	v_subrev_f32_e32 v97, s43, v101
	v_cmp_gt_f32_e32 vcc, s43, v101
	v_cmp_ngt_f32_e64 s[4:5], s45, v101
	v_fma_f32 v97, v96, v97, s42
	s_xor_b64 s[4:5], vcc, s[4:5]
	v_cmp_lt_f32_e32 vcc, v100, v97
	buffer_load_dword v100, off, s[96:99], 0 offset:16 ; 4-byte Folded Reload
	buffer_load_dword v101, off, s[96:99], 0 offset:20 ; 4-byte Folded Reload
	s_xor_b64 s[4:5], s[4:5], -1
	s_and_b64 vcc, s[4:5], vcc
	v_cmp_eq_u32_e64 s[4:5], 0, v95
	v_cndmask_b32_e64 v97, 0, 1, s[4:5]
	v_cndmask_b32_e32 v95, v95, v97, vcc
	s_waitcnt vmcnt(0)
	v_subrev_f32_e32 v97, s43, v101
	v_cmp_gt_f32_e32 vcc, s43, v101
	v_cmp_ngt_f32_e64 s[4:5], s45, v101
	v_fma_f32 v97, v96, v97, s42
	s_xor_b64 s[4:5], vcc, s[4:5]
	v_cmp_lt_f32_e32 vcc, v100, v97
	buffer_load_dword v100, off, s[96:99], 0 offset:24 ; 4-byte Folded Reload
	buffer_load_dword v101, off, s[96:99], 0 offset:28 ; 4-byte Folded Reload
	s_xor_b64 s[4:5], s[4:5], -1
	s_and_b64 vcc, s[4:5], vcc
	v_cmp_eq_u32_e64 s[4:5], 0, v94
	v_cndmask_b32_e64 v97, 0, 1, s[4:5]
	v_cndmask_b32_e32 v94, v94, v97, vcc
	s_waitcnt vmcnt(0)
	v_subrev_f32_e32 v97, s43, v101
	v_cmp_gt_f32_e32 vcc, s43, v101
	v_cmp_ngt_f32_e64 s[4:5], s45, v101
	v_fma_f32 v97, v96, v97, s42
	s_xor_b64 s[4:5], vcc, s[4:5]
	v_cmp_lt_f32_e32 vcc, v100, v97
	buffer_load_dword v100, off, s[96:99], 0 offset:32 ; 4-byte Folded Reload
	buffer_load_dword v101, off, s[96:99], 0 offset:36 ; 4-byte Folded Reload
	s_xor_b64 s[4:5], s[4:5], -1
	s_and_b64 vcc, s[4:5], vcc
	v_cmp_eq_u32_e64 s[4:5], 0, v93
	v_cndmask_b32_e64 v97, 0, 1, s[4:5]
	v_cndmask_b32_e32 v93, v93, v97, vcc
	s_waitcnt vmcnt(0)
	v_subrev_f32_e32 v97, s43, v101
	v_cmp_gt_f32_e32 vcc, s43, v101
	v_cmp_ngt_f32_e64 s[4:5], s45, v101
	v_fma_f32 v97, v96, v97, s42
	s_xor_b64 s[4:5], vcc, s[4:5]
	v_cmp_lt_f32_e32 vcc, v100, v97
	buffer_load_dword v100, off, s[96:99], 0 offset:40 ; 4-byte Folded Reload
	buffer_load_dword v101, off, s[96:99], 0 offset:44 ; 4-byte Folded Reload
	s_xor_b64 s[4:5], s[4:5], -1
	s_and_b64 vcc, s[4:5], vcc
	v_cmp_eq_u32_e64 s[4:5], 0, v92
	v_cndmask_b32_e64 v97, 0, 1, s[4:5]
	v_cndmask_b32_e32 v92, v92, v97, vcc
	s_waitcnt vmcnt(0)
	v_subrev_f32_e32 v97, s43, v101
	v_cmp_gt_f32_e32 vcc, s43, v101
	v_cmp_ngt_f32_e64 s[4:5], s45, v101
	v_fma_f32 v97, v96, v97, s42
	s_xor_b64 s[4:5], vcc, s[4:5]
	v_cmp_lt_f32_e32 vcc, v100, v97
	buffer_load_dword v100, off, s[96:99], 0 offset:48 ; 4-byte Folded Reload
	buffer_load_dword v101, off, s[96:99], 0 offset:52 ; 4-byte Folded Reload
	s_xor_b64 s[4:5], s[4:5], -1
	s_and_b64 vcc, s[4:5], vcc
	v_cmp_eq_u32_e64 s[4:5], 0, v91
	v_cndmask_b32_e64 v97, 0, 1, s[4:5]
	v_cndmask_b32_e32 v91, v91, v97, vcc
	s_waitcnt vmcnt(0)
	v_subrev_f32_e32 v97, s43, v101
	v_cmp_gt_f32_e32 vcc, s43, v101
	v_cmp_ngt_f32_e64 s[4:5], s45, v101
	v_fma_f32 v97, v96, v97, s42
	s_xor_b64 s[4:5], vcc, s[4:5]
	v_cmp_lt_f32_e32 vcc, v100, v97
	buffer_load_dword v100, off, s[96:99], 0 offset:56 ; 4-byte Folded Reload
	buffer_load_dword v101, off, s[96:99], 0 offset:60 ; 4-byte Folded Reload
	s_xor_b64 s[4:5], s[4:5], -1
	s_and_b64 vcc, s[4:5], vcc
	v_cmp_eq_u32_e64 s[4:5], 0, v90
	v_cndmask_b32_e64 v97, 0, 1, s[4:5]
	v_cndmask_b32_e32 v90, v90, v97, vcc
	s_waitcnt vmcnt(0)
	v_subrev_f32_e32 v97, s43, v101
	v_cmp_gt_f32_e32 vcc, s43, v101
	v_cmp_ngt_f32_e64 s[4:5], s45, v101
	v_fma_f32 v97, v96, v97, s42
	s_xor_b64 s[4:5], vcc, s[4:5]
	v_cmp_lt_f32_e32 vcc, v100, v97
	buffer_load_dword v100, off, s[96:99], 0 offset:64 ; 4-byte Folded Reload
	buffer_load_dword v101, off, s[96:99], 0 offset:68 ; 4-byte Folded Reload
	s_xor_b64 s[4:5], s[4:5], -1
	s_and_b64 vcc, s[4:5], vcc
	v_cmp_eq_u32_e64 s[4:5], 0, v89
	v_cndmask_b32_e64 v97, 0, 1, s[4:5]
	v_cndmask_b32_e32 v89, v89, v97, vcc
	s_waitcnt vmcnt(0)
	v_subrev_f32_e32 v97, s43, v101
	v_cmp_gt_f32_e32 vcc, s43, v101
	v_cmp_ngt_f32_e64 s[4:5], s45, v101
	v_fma_f32 v97, v96, v97, s42
	s_xor_b64 s[4:5], vcc, s[4:5]
	v_cmp_lt_f32_e32 vcc, v100, v97
	buffer_load_dword v100, off, s[96:99], 0 offset:72 ; 4-byte Folded Reload
	buffer_load_dword v101, off, s[96:99], 0 offset:76 ; 4-byte Folded Reload
	s_xor_b64 s[4:5], s[4:5], -1
	s_and_b64 vcc, s[4:5], vcc
	v_cmp_eq_u32_e64 s[4:5], 0, v88
	v_cndmask_b32_e64 v97, 0, 1, s[4:5]
	v_cndmask_b32_e32 v88, v88, v97, vcc
	s_waitcnt vmcnt(0)
	v_subrev_f32_e32 v97, s43, v101
	v_cmp_gt_f32_e32 vcc, s43, v101
	v_cmp_ngt_f32_e64 s[4:5], s45, v101
	v_fma_f32 v97, v96, v97, s42
	s_xor_b64 s[4:5], vcc, s[4:5]
	v_cmp_lt_f32_e32 vcc, v100, v97
	buffer_load_dword v100, off, s[96:99], 0 offset:80 ; 4-byte Folded Reload
	buffer_load_dword v101, off, s[96:99], 0 offset:84 ; 4-byte Folded Reload
	s_xor_b64 s[4:5], s[4:5], -1
	s_and_b64 vcc, s[4:5], vcc
	v_cmp_eq_u32_e64 s[4:5], 0, v87
	v_cndmask_b32_e64 v97, 0, 1, s[4:5]
	v_cndmask_b32_e32 v87, v87, v97, vcc
	s_waitcnt vmcnt(0)
	v_subrev_f32_e32 v97, s43, v101
	v_cmp_gt_f32_e32 vcc, s43, v101
	v_cmp_ngt_f32_e64 s[4:5], s45, v101
	v_fma_f32 v97, v96, v97, s42
	s_xor_b64 s[4:5], vcc, s[4:5]
	v_cmp_lt_f32_e32 vcc, v100, v97
	buffer_load_dword v100, off, s[96:99], 0 offset:88 ; 4-byte Folded Reload
	buffer_load_dword v101, off, s[96:99], 0 offset:92 ; 4-byte Folded Reload
	s_xor_b64 s[4:5], s[4:5], -1
	s_and_b64 vcc, s[4:5], vcc
	v_cmp_eq_u32_e64 s[4:5], 0, v86
	v_cndmask_b32_e64 v97, 0, 1, s[4:5]
	v_cndmask_b32_e32 v86, v86, v97, vcc
	s_waitcnt vmcnt(0)
	v_subrev_f32_e32 v97, s43, v101
	v_cmp_gt_f32_e32 vcc, s43, v101
	v_cmp_ngt_f32_e64 s[4:5], s45, v101
	v_fma_f32 v97, v96, v97, s42
	s_xor_b64 s[4:5], vcc, s[4:5]
	v_cmp_lt_f32_e32 vcc, v100, v97
	buffer_load_dword v100, off, s[96:99], 0 offset:96 ; 4-byte Folded Reload
	buffer_load_dword v101, off, s[96:99], 0 offset:100 ; 4-byte Folded Reload
	s_xor_b64 s[4:5], s[4:5], -1
	s_and_b64 vcc, s[4:5], vcc
	v_cmp_eq_u32_e64 s[4:5], 0, v85
	v_cndmask_b32_e64 v97, 0, 1, s[4:5]
	v_cndmask_b32_e32 v85, v85, v97, vcc
	s_waitcnt vmcnt(0)
	v_subrev_f32_e32 v97, s43, v101
	v_cmp_gt_f32_e32 vcc, s43, v101
	v_cmp_ngt_f32_e64 s[4:5], s45, v101
	v_fma_f32 v97, v96, v97, s42
	s_xor_b64 s[4:5], vcc, s[4:5]
	v_cmp_lt_f32_e32 vcc, v100, v97
	buffer_load_dword v100, off, s[96:99], 0 offset:104 ; 4-byte Folded Reload
	buffer_load_dword v101, off, s[96:99], 0 offset:108 ; 4-byte Folded Reload
	s_xor_b64 s[4:5], s[4:5], -1
	s_and_b64 vcc, s[4:5], vcc
	v_cmp_eq_u32_e64 s[4:5], 0, v84
	v_cndmask_b32_e64 v97, 0, 1, s[4:5]
	v_cndmask_b32_e32 v84, v84, v97, vcc
	s_waitcnt vmcnt(0)
	v_subrev_f32_e32 v97, s43, v101
	v_cmp_gt_f32_e32 vcc, s43, v101
	v_cmp_ngt_f32_e64 s[4:5], s45, v101
	v_fma_f32 v97, v96, v97, s42
	s_xor_b64 s[4:5], vcc, s[4:5]
	v_cmp_lt_f32_e32 vcc, v100, v97
	buffer_load_dword v100, off, s[96:99], 0 offset:112 ; 4-byte Folded Reload
	buffer_load_dword v101, off, s[96:99], 0 offset:116 ; 4-byte Folded Reload
	s_xor_b64 s[4:5], s[4:5], -1
	s_and_b64 vcc, s[4:5], vcc
	v_cmp_eq_u32_e64 s[4:5], 0, v83
	v_cndmask_b32_e64 v97, 0, 1, s[4:5]
	v_cndmask_b32_e32 v83, v83, v97, vcc
	s_waitcnt vmcnt(0)
	v_subrev_f32_e32 v97, s43, v101
	v_cmp_gt_f32_e32 vcc, s43, v101
	v_cmp_ngt_f32_e64 s[4:5], s45, v101
	v_fma_f32 v97, v96, v97, s42
	s_xor_b64 s[4:5], vcc, s[4:5]
	v_cmp_lt_f32_e32 vcc, v100, v97
	buffer_load_dword v100, off, s[96:99], 0 offset:120 ; 4-byte Folded Reload
	buffer_load_dword v101, off, s[96:99], 0 offset:124 ; 4-byte Folded Reload
	s_xor_b64 s[4:5], s[4:5], -1
	s_and_b64 vcc, s[4:5], vcc
	v_cmp_eq_u32_e64 s[4:5], 0, v82
	v_cndmask_b32_e64 v97, 0, 1, s[4:5]
	v_cndmask_b32_e32 v82, v82, v97, vcc
	s_waitcnt vmcnt(0)
	v_subrev_f32_e32 v97, s43, v101
	v_cmp_gt_f32_e32 vcc, s43, v101
	v_cmp_ngt_f32_e64 s[4:5], s45, v101
	v_fma_f32 v97, v96, v97, s42
	s_xor_b64 s[4:5], vcc, s[4:5]
	v_cmp_lt_f32_e32 vcc, v100, v97
	buffer_load_dword v100, off, s[96:99], 0 offset:128 ; 4-byte Folded Reload
	buffer_load_dword v101, off, s[96:99], 0 offset:132 ; 4-byte Folded Reload
	s_xor_b64 s[4:5], s[4:5], -1
	s_and_b64 vcc, s[4:5], vcc
	v_cmp_eq_u32_e64 s[4:5], 0, v81
	v_cndmask_b32_e64 v97, 0, 1, s[4:5]
	v_cndmask_b32_e32 v81, v81, v97, vcc
	s_waitcnt vmcnt(0)
	v_subrev_f32_e32 v97, s43, v101
	v_cmp_gt_f32_e32 vcc, s43, v101
	v_cmp_ngt_f32_e64 s[4:5], s45, v101
	v_fma_f32 v97, v96, v97, s42
	s_xor_b64 s[4:5], vcc, s[4:5]
	v_cmp_lt_f32_e32 vcc, v100, v97
	buffer_load_dword v100, off, s[96:99], 0 offset:136 ; 4-byte Folded Reload
	buffer_load_dword v101, off, s[96:99], 0 offset:140 ; 4-byte Folded Reload
	s_xor_b64 s[4:5], s[4:5], -1
	s_and_b64 vcc, s[4:5], vcc
	v_cmp_eq_u32_e64 s[4:5], 0, v80
	v_cndmask_b32_e64 v97, 0, 1, s[4:5]
	v_cndmask_b32_e32 v80, v80, v97, vcc
	s_waitcnt vmcnt(0)
	v_subrev_f32_e32 v97, s43, v101
	v_cmp_gt_f32_e32 vcc, s43, v101
	v_cmp_ngt_f32_e64 s[4:5], s45, v101
	v_fma_f32 v97, v96, v97, s42
	s_xor_b64 s[4:5], vcc, s[4:5]
	v_cmp_lt_f32_e32 vcc, v100, v97
	buffer_load_dword v100, off, s[96:99], 0 offset:144 ; 4-byte Folded Reload
	buffer_load_dword v101, off, s[96:99], 0 offset:148 ; 4-byte Folded Reload
	s_xor_b64 s[4:5], s[4:5], -1
	s_and_b64 vcc, s[4:5], vcc
	v_cmp_eq_u32_e64 s[4:5], 0, v79
	v_cndmask_b32_e64 v97, 0, 1, s[4:5]
	v_cndmask_b32_e32 v79, v79, v97, vcc
	s_waitcnt vmcnt(0)
	v_subrev_f32_e32 v97, s43, v101
	v_cmp_gt_f32_e32 vcc, s43, v101
	v_cmp_ngt_f32_e64 s[4:5], s45, v101
	v_fma_f32 v97, v96, v97, s42
	s_xor_b64 s[4:5], vcc, s[4:5]
	v_cmp_lt_f32_e32 vcc, v100, v97
	buffer_load_dword v100, off, s[96:99], 0 offset:152 ; 4-byte Folded Reload
	buffer_load_dword v101, off, s[96:99], 0 offset:156 ; 4-byte Folded Reload
	s_xor_b64 s[4:5], s[4:5], -1
	s_and_b64 vcc, s[4:5], vcc
	v_cmp_eq_u32_e64 s[4:5], 0, v78
	v_cndmask_b32_e64 v97, 0, 1, s[4:5]
	v_cndmask_b32_e32 v78, v78, v97, vcc
	s_waitcnt vmcnt(0)
	v_subrev_f32_e32 v97, s43, v101
	v_cmp_gt_f32_e32 vcc, s43, v101
	v_cmp_ngt_f32_e64 s[4:5], s45, v101
	v_fma_f32 v97, v96, v97, s42
	s_xor_b64 s[4:5], vcc, s[4:5]
	v_cmp_lt_f32_e32 vcc, v100, v97
	buffer_load_dword v100, off, s[96:99], 0 offset:160 ; 4-byte Folded Reload
	buffer_load_dword v101, off, s[96:99], 0 offset:164 ; 4-byte Folded Reload
	s_xor_b64 s[4:5], s[4:5], -1
	s_and_b64 vcc, s[4:5], vcc
	v_cmp_eq_u32_e64 s[4:5], 0, v75
	v_cndmask_b32_e64 v97, 0, 1, s[4:5]
	v_cndmask_b32_e32 v75, v75, v97, vcc
	s_waitcnt vmcnt(0)
	v_subrev_f32_e32 v97, s43, v101
	v_cmp_gt_f32_e32 vcc, s43, v101
	v_cmp_ngt_f32_e64 s[4:5], s45, v101
	v_fma_f32 v97, v96, v97, s42
	s_xor_b64 s[4:5], vcc, s[4:5]
	v_cmp_lt_f32_e32 vcc, v100, v97
	buffer_load_dword v100, off, s[96:99], 0 offset:168 ; 4-byte Folded Reload
	buffer_load_dword v101, off, s[96:99], 0 offset:172 ; 4-byte Folded Reload
	s_xor_b64 s[4:5], s[4:5], -1
	s_and_b64 vcc, s[4:5], vcc
	v_cmp_eq_u32_e64 s[4:5], 0, v74
	v_cndmask_b32_e64 v97, 0, 1, s[4:5]
	v_cndmask_b32_e32 v74, v74, v97, vcc
	s_waitcnt vmcnt(0)
	v_subrev_f32_e32 v97, s43, v101
	v_cmp_gt_f32_e32 vcc, s43, v101
	v_cmp_ngt_f32_e64 s[4:5], s45, v101
	v_fma_f32 v97, v96, v97, s42
	s_xor_b64 s[4:5], vcc, s[4:5]
	v_cmp_lt_f32_e32 vcc, v100, v97
	buffer_load_dword v100, off, s[96:99], 0 offset:176 ; 4-byte Folded Reload
	buffer_load_dword v101, off, s[96:99], 0 offset:180 ; 4-byte Folded Reload
	s_xor_b64 s[4:5], s[4:5], -1
	s_and_b64 vcc, s[4:5], vcc
	v_cmp_eq_u32_e64 s[4:5], 0, v73
	v_cndmask_b32_e64 v97, 0, 1, s[4:5]
	v_cndmask_b32_e32 v73, v73, v97, vcc
	s_waitcnt vmcnt(0)
	v_subrev_f32_e32 v97, s43, v101
	v_cmp_gt_f32_e32 vcc, s43, v101
	v_cmp_ngt_f32_e64 s[4:5], s45, v101
	v_fma_f32 v97, v96, v97, s42
	s_xor_b64 s[4:5], vcc, s[4:5]
	v_cmp_lt_f32_e32 vcc, v100, v97
	buffer_load_dword v100, off, s[96:99], 0 offset:184 ; 4-byte Folded Reload
	buffer_load_dword v101, off, s[96:99], 0 offset:188 ; 4-byte Folded Reload
	s_xor_b64 s[4:5], s[4:5], -1
	s_and_b64 vcc, s[4:5], vcc
	v_cmp_eq_u32_e64 s[4:5], 0, v72
	v_cndmask_b32_e64 v97, 0, 1, s[4:5]
	v_cndmask_b32_e32 v72, v72, v97, vcc
	s_waitcnt vmcnt(0)
	v_subrev_f32_e32 v97, s43, v101
	v_cmp_gt_f32_e32 vcc, s43, v101
	v_cmp_ngt_f32_e64 s[4:5], s45, v101
	v_fma_f32 v97, v96, v97, s42
	s_xor_b64 s[4:5], vcc, s[4:5]
	v_cmp_lt_f32_e32 vcc, v100, v97
	buffer_load_dword v100, off, s[96:99], 0 offset:192 ; 4-byte Folded Reload
	buffer_load_dword v101, off, s[96:99], 0 offset:196 ; 4-byte Folded Reload
	s_xor_b64 s[4:5], s[4:5], -1
	s_and_b64 vcc, s[4:5], vcc
	v_cmp_eq_u32_e64 s[4:5], 0, v69
	v_cndmask_b32_e64 v97, 0, 1, s[4:5]
	v_cndmask_b32_e32 v69, v69, v97, vcc
	s_waitcnt vmcnt(0)
	v_subrev_f32_e32 v97, s43, v101
	v_cmp_gt_f32_e32 vcc, s43, v101
	v_cmp_ngt_f32_e64 s[4:5], s45, v101
	v_fma_f32 v97, v96, v97, s42
	s_xor_b64 s[4:5], vcc, s[4:5]
	v_cmp_lt_f32_e32 vcc, v100, v97
	buffer_load_dword v100, off, s[96:99], 0 offset:200 ; 4-byte Folded Reload
	buffer_load_dword v101, off, s[96:99], 0 offset:204 ; 4-byte Folded Reload
	s_xor_b64 s[4:5], s[4:5], -1
	s_and_b64 vcc, s[4:5], vcc
	v_cmp_eq_u32_e64 s[4:5], 0, v68
	v_cndmask_b32_e64 v97, 0, 1, s[4:5]
	v_cndmask_b32_e32 v68, v68, v97, vcc
	s_waitcnt vmcnt(0)
	v_subrev_f32_e32 v97, s43, v101
	v_cmp_gt_f32_e32 vcc, s43, v101
	v_cmp_ngt_f32_e64 s[4:5], s45, v101
	v_fma_f32 v97, v96, v97, s42
	s_xor_b64 s[4:5], vcc, s[4:5]
	v_cmp_lt_f32_e32 vcc, v100, v97
	buffer_load_dword v100, off, s[96:99], 0 offset:208 ; 4-byte Folded Reload
	buffer_load_dword v101, off, s[96:99], 0 offset:212 ; 4-byte Folded Reload
	s_xor_b64 s[4:5], s[4:5], -1
	s_and_b64 vcc, s[4:5], vcc
	v_cmp_eq_u32_e64 s[4:5], 0, v65
	v_cndmask_b32_e64 v97, 0, 1, s[4:5]
	v_cndmask_b32_e32 v65, v65, v97, vcc
	s_waitcnt vmcnt(0)
	v_subrev_f32_e32 v97, s43, v101
	v_cmp_gt_f32_e32 vcc, s43, v101
	v_cmp_ngt_f32_e64 s[4:5], s45, v101
	v_fma_f32 v97, v96, v97, s42
	s_xor_b64 s[4:5], vcc, s[4:5]
	v_cmp_lt_f32_e32 vcc, v100, v97
	buffer_load_dword v100, off, s[96:99], 0 offset:216 ; 4-byte Folded Reload
	buffer_load_dword v101, off, s[96:99], 0 offset:220 ; 4-byte Folded Reload
	s_xor_b64 s[4:5], s[4:5], -1
	s_and_b64 vcc, s[4:5], vcc
	v_cmp_eq_u32_e64 s[4:5], 0, v64
	v_cndmask_b32_e64 v97, 0, 1, s[4:5]
	v_cndmask_b32_e32 v64, v64, v97, vcc
	s_waitcnt vmcnt(0)
	v_subrev_f32_e32 v97, s43, v101
	v_cmp_gt_f32_e32 vcc, s43, v101
	v_cmp_ngt_f32_e64 s[4:5], s45, v101
	v_fma_f32 v97, v96, v97, s42
	s_xor_b64 s[4:5], vcc, s[4:5]
	v_cmp_lt_f32_e32 vcc, v100, v97
	buffer_load_dword v100, off, s[96:99], 0 offset:224 ; 4-byte Folded Reload
	buffer_load_dword v101, off, s[96:99], 0 offset:228 ; 4-byte Folded Reload
	s_xor_b64 s[4:5], s[4:5], -1
	s_and_b64 vcc, s[4:5], vcc
	v_cmp_eq_u32_e64 s[4:5], 0, v63
	v_cndmask_b32_e64 v97, 0, 1, s[4:5]
	v_cndmask_b32_e32 v63, v63, v97, vcc
	s_waitcnt vmcnt(0)
	v_subrev_f32_e32 v97, s43, v101
	v_cmp_gt_f32_e32 vcc, s43, v101
	v_cmp_ngt_f32_e64 s[4:5], s45, v101
	v_fma_f32 v97, v96, v97, s42
	s_xor_b64 s[4:5], vcc, s[4:5]
	v_cmp_lt_f32_e32 vcc, v100, v97
	buffer_load_dword v100, off, s[96:99], 0 offset:232 ; 4-byte Folded Reload
	buffer_load_dword v101, off, s[96:99], 0 offset:236 ; 4-byte Folded Reload
	s_xor_b64 s[4:5], s[4:5], -1
	s_and_b64 vcc, s[4:5], vcc
	v_cmp_eq_u32_e64 s[4:5], 0, v62
	v_cndmask_b32_e64 v97, 0, 1, s[4:5]
	v_cndmask_b32_e32 v62, v62, v97, vcc
	s_waitcnt vmcnt(0)
	v_subrev_f32_e32 v97, s43, v101
	v_cmp_gt_f32_e32 vcc, s43, v101
	v_cmp_ngt_f32_e64 s[4:5], s45, v101
	v_fma_f32 v97, v96, v97, s42
	s_xor_b64 s[4:5], vcc, s[4:5]
	v_cmp_lt_f32_e32 vcc, v100, v97
	buffer_load_dword v100, off, s[96:99], 0 offset:240 ; 4-byte Folded Reload
	buffer_load_dword v101, off, s[96:99], 0 offset:244 ; 4-byte Folded Reload
	s_xor_b64 s[4:5], s[4:5], -1
	s_and_b64 vcc, s[4:5], vcc
	v_cmp_eq_u32_e64 s[4:5], 0, v59
	v_cndmask_b32_e64 v97, 0, 1, s[4:5]
	v_cndmask_b32_e32 v59, v59, v97, vcc
	s_waitcnt vmcnt(0)
	v_subrev_f32_e32 v97, s43, v101
	v_cmp_gt_f32_e32 vcc, s43, v101
	v_cmp_ngt_f32_e64 s[4:5], s45, v101
	v_fma_f32 v97, v96, v97, s42
	s_xor_b64 s[4:5], vcc, s[4:5]
	v_cmp_lt_f32_e32 vcc, v100, v97
	buffer_load_dword v100, off, s[96:99], 0 offset:248 ; 4-byte Folded Reload
	buffer_load_dword v101, off, s[96:99], 0 offset:252 ; 4-byte Folded Reload
	s_xor_b64 s[4:5], s[4:5], -1
	s_and_b64 vcc, s[4:5], vcc
	v_cmp_eq_u32_e64 s[4:5], 0, v58
	v_cndmask_b32_e64 v97, 0, 1, s[4:5]
	v_cndmask_b32_e32 v58, v58, v97, vcc
	s_waitcnt vmcnt(0)
	v_subrev_f32_e32 v97, s43, v101
	v_cmp_gt_f32_e32 vcc, s43, v101
	v_cmp_ngt_f32_e64 s[4:5], s45, v101
	v_fma_f32 v97, v96, v97, s42
	s_xor_b64 s[4:5], vcc, s[4:5]
	v_cmp_lt_f32_e32 vcc, v100, v97
	buffer_load_dword v100, off, s[96:99], 0 offset:256 ; 4-byte Folded Reload
	buffer_load_dword v101, off, s[96:99], 0 offset:260 ; 4-byte Folded Reload
	s_xor_b64 s[4:5], s[4:5], -1
	s_and_b64 vcc, s[4:5], vcc
	v_cmp_eq_u32_e64 s[4:5], 0, v57
	v_cndmask_b32_e64 v97, 0, 1, s[4:5]
	v_cndmask_b32_e32 v57, v57, v97, vcc
	s_waitcnt vmcnt(0)
	v_subrev_f32_e32 v97, s43, v101
	v_cmp_gt_f32_e32 vcc, s43, v101
	v_cmp_ngt_f32_e64 s[4:5], s45, v101
	v_fma_f32 v97, v96, v97, s42
	s_xor_b64 s[4:5], vcc, s[4:5]
	v_cmp_lt_f32_e32 vcc, v100, v97
	buffer_load_dword v100, off, s[96:99], 0 offset:264 ; 4-byte Folded Reload
	buffer_load_dword v101, off, s[96:99], 0 offset:268 ; 4-byte Folded Reload
	s_xor_b64 s[4:5], s[4:5], -1
	s_and_b64 vcc, s[4:5], vcc
	v_cmp_eq_u32_e64 s[4:5], 0, v56
	v_cndmask_b32_e64 v97, 0, 1, s[4:5]
	v_cndmask_b32_e32 v56, v56, v97, vcc
	s_waitcnt vmcnt(0)
	v_subrev_f32_e32 v97, s43, v101
	v_cmp_gt_f32_e32 vcc, s43, v101
	v_cmp_ngt_f32_e64 s[4:5], s45, v101
	v_fma_f32 v97, v96, v97, s42
	s_xor_b64 s[4:5], vcc, s[4:5]
	v_cmp_lt_f32_e32 vcc, v100, v97
	buffer_load_dword v100, off, s[96:99], 0 offset:272 ; 4-byte Folded Reload
	buffer_load_dword v101, off, s[96:99], 0 offset:276 ; 4-byte Folded Reload
	s_xor_b64 s[4:5], s[4:5], -1
	s_and_b64 vcc, s[4:5], vcc
	v_cmp_eq_u32_e64 s[4:5], 0, v53
	v_cndmask_b32_e64 v97, 0, 1, s[4:5]
	v_cndmask_b32_e32 v53, v53, v97, vcc
	s_waitcnt vmcnt(0)
	v_subrev_f32_e32 v97, s43, v101
	v_cmp_gt_f32_e32 vcc, s43, v101
	v_cmp_ngt_f32_e64 s[4:5], s45, v101
	v_fma_f32 v97, v96, v97, s42
	s_xor_b64 s[4:5], vcc, s[4:5]
	v_cmp_lt_f32_e32 vcc, v100, v97
	buffer_load_dword v100, off, s[96:99], 0 offset:280 ; 4-byte Folded Reload
	buffer_load_dword v101, off, s[96:99], 0 offset:284 ; 4-byte Folded Reload
	s_xor_b64 s[4:5], s[4:5], -1
	s_and_b64 vcc, s[4:5], vcc
	v_cmp_eq_u32_e64 s[4:5], 0, v52
	v_cndmask_b32_e64 v97, 0, 1, s[4:5]
	v_cndmask_b32_e32 v52, v52, v97, vcc
	s_waitcnt vmcnt(0)
	v_cmp_gt_f32_e32 vcc, s43, v101
	v_cmp_ngt_f32_e64 s[4:5], s45, v101
	v_subrev_f32_e32 v97, s43, v101
	s_xor_b64 s[4:5], vcc, s[4:5]
	v_fma_f32 v97, v96, v97, s42
	s_xor_b64 s[4:5], s[4:5], -1
	v_cmp_lt_f32_e32 vcc, v100, v97
	s_and_b64 vcc, s[4:5], vcc
	v_cmp_eq_u32_e64 s[4:5], 0, v49
	v_cndmask_b32_e64 v97, 0, 1, s[4:5]
	v_cndmask_b32_e32 v49, v49, v97, vcc
	v_cmp_gt_f32_e32 vcc, s43, v105
	v_cmp_ngt_f32_e64 s[4:5], s45, v105
	v_subrev_f32_e32 v97, s43, v105
	s_xor_b64 s[4:5], vcc, s[4:5]
	v_fma_f32 v97, v96, v97, s42
	s_xor_b64 s[4:5], s[4:5], -1
	v_cmp_lt_f32_e32 vcc, v104, v97
	s_and_b64 vcc, s[4:5], vcc
	v_cmp_eq_u32_e64 s[4:5], 0, v48
	v_cndmask_b32_e64 v97, 0, 1, s[4:5]
	v_cndmask_b32_e32 v48, v48, v97, vcc
	;; [unrolled: 11-line block ×28, first 2 shown]
	v_cmp_gt_f32_e32 vcc, s43, v3
	v_cmp_ngt_f32_e64 s[4:5], s45, v3
	v_subrev_f32_e32 v97, s43, v3
	s_xor_b64 s[4:5], vcc, s[4:5]
	v_fma_f32 v96, v96, v97, s42
	s_xor_b64 s[4:5], s[4:5], -1
	v_cmp_lt_f32_e32 vcc, v2, v96
	s_and_b64 vcc, s[4:5], vcc
	v_cmp_eq_u32_e64 s[4:5], 0, v4
	s_add_u32 s40, s40, 8
	v_cndmask_b32_e64 v96, 0, 1, s[4:5]
	s_addc_u32 s41, s41, 0
	v_cndmask_b32_e32 v4, v4, v96, vcc
	s_cmpk_lg_i32 s40, 0x12c0
	s_cbranch_scc0 .LBB7_134
; %bb.133:                              ;   in Loop: Header=BB7_128 Depth=1
	s_mov_b64 s[44:45], s[42:43]
	s_branch .LBB7_128
.LBB7_134:
	v_lshlrev_b64 v[0:1], 2, v[98:99]
	v_mov_b32_e32 v2, s37
	v_add_co_u32_e32 v0, vcc, s36, v0
	v_addc_co_u32_e32 v1, vcc, v2, v1, vcc
	global_store_dword v[0:1], v103, off
	s_mov_b64 s[4:5], exec
	v_readlane_b32 s38, v127, 0
	v_readlane_b32 s39, v127, 1
	s_and_b64 s[38:39], s[4:5], s[38:39]
	s_mov_b64 exec, s[38:39]
	s_cbranch_execz .LBB7_136
; %bb.135:
	global_store_dword v[0:1], v95, off offset:1024
.LBB7_136:
	s_or_b64 exec, exec, s[4:5]
	s_mov_b64 s[4:5], exec
	v_readlane_b32 s38, v127, 2
	v_readlane_b32 s39, v127, 3
	s_and_b64 s[38:39], s[4:5], s[38:39]
	s_mov_b64 exec, s[38:39]
	s_cbranch_execz .LBB7_138
; %bb.137:
	global_store_dword v[0:1], v94, off offset:2048
.LBB7_138:
	s_or_b64 exec, exec, s[4:5]
	;; [unrolled: 10-line block ×3, first 2 shown]
	s_mov_b64 s[4:5], exec
	v_readlane_b32 s38, v127, 6
	v_readlane_b32 s39, v127, 7
	s_and_b64 s[38:39], s[4:5], s[38:39]
	s_mov_b64 exec, s[38:39]
	s_cbranch_execz .LBB7_142
; %bb.141:
	buffer_load_dword v2, off, s[96:99], 0 offset:296 ; 4-byte Folded Reload
	buffer_load_dword v3, off, s[96:99], 0 offset:300 ; 4-byte Folded Reload
	v_mov_b32_e32 v6, s37
	s_waitcnt vmcnt(0)
	v_lshlrev_b64 v[2:3], 2, v[2:3]
	v_add_co_u32_e32 v2, vcc, s36, v2
	v_addc_co_u32_e32 v3, vcc, v6, v3, vcc
	global_store_dword v[2:3], v92, off
.LBB7_142:
	s_or_b64 exec, exec, s[4:5]
	s_mov_b64 s[4:5], exec
	v_readlane_b32 s38, v127, 8
	v_readlane_b32 s39, v127, 9
	s_and_b64 s[38:39], s[4:5], s[38:39]
	s_mov_b64 exec, s[38:39]
	s_cbranch_execz .LBB7_144
; %bb.143:
	v_add_co_u32_e32 v2, vcc, 0x1000, v0
	v_addc_co_u32_e32 v3, vcc, 0, v1, vcc
	global_store_dword v[2:3], v91, off offset:1024
.LBB7_144:
	s_or_b64 exec, exec, s[4:5]
	s_mov_b64 s[4:5], exec
	v_readlane_b32 s38, v127, 10
	v_readlane_b32 s39, v127, 11
	s_and_b64 s[38:39], s[4:5], s[38:39]
	s_mov_b64 exec, s[38:39]
	s_cbranch_execz .LBB7_146
; %bb.145:
	v_add_co_u32_e32 v2, vcc, 0x1000, v0
	v_addc_co_u32_e32 v3, vcc, 0, v1, vcc
	global_store_dword v[2:3], v90, off offset:2048
.LBB7_146:
	s_or_b64 exec, exec, s[4:5]
	s_mov_b64 s[4:5], exec
	v_readlane_b32 s38, v127, 12
	v_readlane_b32 s39, v127, 13
	s_and_b64 s[38:39], s[4:5], s[38:39]
	s_mov_b64 exec, s[38:39]
	s_cbranch_execz .LBB7_148
; %bb.147:
	v_add_co_u32_e32 v2, vcc, 0x1000, v0
	v_addc_co_u32_e32 v3, vcc, 0, v1, vcc
	global_store_dword v[2:3], v89, off offset:3072
.LBB7_148:
	s_or_b64 exec, exec, s[4:5]
	s_mov_b64 s[4:5], exec
	v_readlane_b32 s38, v127, 14
	v_readlane_b32 s39, v127, 15
	s_and_b64 s[38:39], s[4:5], s[38:39]
	s_mov_b64 exec, s[38:39]
	s_cbranch_execz .LBB7_150
; %bb.149:
	buffer_load_dword v2, off, s[96:99], 0 offset:304 ; 4-byte Folded Reload
	buffer_load_dword v3, off, s[96:99], 0 offset:308 ; 4-byte Folded Reload
	v_mov_b32_e32 v6, s37
	s_waitcnt vmcnt(0)
	v_lshlrev_b64 v[2:3], 2, v[2:3]
	v_add_co_u32_e32 v2, vcc, s36, v2
	v_addc_co_u32_e32 v3, vcc, v6, v3, vcc
	global_store_dword v[2:3], v88, off
.LBB7_150:
	s_or_b64 exec, exec, s[4:5]
	s_mov_b64 s[4:5], exec
	v_readlane_b32 s38, v127, 16
	v_readlane_b32 s39, v127, 17
	s_and_b64 s[38:39], s[4:5], s[38:39]
	s_mov_b64 exec, s[38:39]
	s_cbranch_execz .LBB7_152
; %bb.151:
	v_add_co_u32_e32 v2, vcc, 0x2000, v0
	v_addc_co_u32_e32 v3, vcc, 0, v1, vcc
	global_store_dword v[2:3], v87, off offset:1024
.LBB7_152:
	s_or_b64 exec, exec, s[4:5]
	s_mov_b64 s[4:5], exec
	v_readlane_b32 s38, v127, 18
	v_readlane_b32 s39, v127, 19
	s_and_b64 s[38:39], s[4:5], s[38:39]
	s_mov_b64 exec, s[38:39]
	s_cbranch_execz .LBB7_154
; %bb.153:
	v_add_co_u32_e32 v2, vcc, 0x2000, v0
	v_addc_co_u32_e32 v3, vcc, 0, v1, vcc
	global_store_dword v[2:3], v86, off offset:2048
.LBB7_154:
	s_or_b64 exec, exec, s[4:5]
	s_mov_b64 s[4:5], exec
	v_readlane_b32 s38, v127, 20
	v_readlane_b32 s39, v127, 21
	s_and_b64 s[38:39], s[4:5], s[38:39]
	s_mov_b64 exec, s[38:39]
	s_cbranch_execz .LBB7_156
; %bb.155:
	v_add_co_u32_e32 v2, vcc, 0x2000, v0
	v_addc_co_u32_e32 v3, vcc, 0, v1, vcc
	global_store_dword v[2:3], v85, off offset:3072
.LBB7_156:
	s_or_b64 exec, exec, s[4:5]
	;; [unrolled: 53-line block ×4, first 2 shown]
	s_mov_b64 s[4:5], exec
	v_readlane_b32 s38, v127, 38
	v_readlane_b32 s39, v127, 39
	s_and_b64 s[38:39], s[4:5], s[38:39]
	s_mov_b64 exec, s[38:39]
	s_cbranch_execz .LBB7_174
; %bb.173:
	buffer_load_dword v2, off, s[96:99], 0 offset:328 ; 4-byte Folded Reload
	buffer_load_dword v3, off, s[96:99], 0 offset:332 ; 4-byte Folded Reload
	v_mov_b32_e32 v6, s37
	s_waitcnt vmcnt(0)
	v_lshlrev_b64 v[2:3], 2, v[2:3]
	v_add_co_u32_e32 v2, vcc, s36, v2
	v_addc_co_u32_e32 v3, vcc, v6, v3, vcc
	global_store_dword v[2:3], v74, off
.LBB7_174:
	s_or_b64 exec, exec, s[4:5]
	s_mov_b64 s[4:5], exec
	v_readlane_b32 s38, v127, 40
	v_readlane_b32 s39, v127, 41
	s_and_b64 s[38:39], s[4:5], s[38:39]
	s_mov_b64 exec, s[38:39]
	s_cbranch_execz .LBB7_176
; %bb.175:
	v_add_co_u32_e32 v2, vcc, 0x5000, v0
	v_addc_co_u32_e32 v3, vcc, 0, v1, vcc
	global_store_dword v[2:3], v73, off offset:1024
.LBB7_176:
	s_or_b64 exec, exec, s[4:5]
	s_mov_b64 s[4:5], exec
	v_readlane_b32 s38, v127, 42
	v_readlane_b32 s39, v127, 43
	s_and_b64 s[38:39], s[4:5], s[38:39]
	s_mov_b64 exec, s[38:39]
	s_cbranch_execz .LBB7_178
; %bb.177:
	v_add_co_u32_e32 v2, vcc, 0x5000, v0
	v_addc_co_u32_e32 v3, vcc, 0, v1, vcc
	global_store_dword v[2:3], v72, off offset:2048
.LBB7_178:
	s_or_b64 exec, exec, s[4:5]
	s_mov_b64 s[4:5], exec
	v_readlane_b32 s38, v127, 44
	v_readlane_b32 s39, v127, 45
	s_and_b64 s[38:39], s[4:5], s[38:39]
	s_mov_b64 exec, s[38:39]
	s_cbranch_execnz .LBB7_221
; %bb.179:
	s_or_b64 exec, exec, s[4:5]
	s_and_saveexec_b64 s[4:5], s[48:49]
	s_cbranch_execnz .LBB7_222
.LBB7_180:
	s_or_b64 exec, exec, s[4:5]
	s_and_saveexec_b64 s[4:5], s[50:51]
	s_cbranch_execnz .LBB7_223
.LBB7_181:
	s_or_b64 exec, exec, s[4:5]
	s_and_saveexec_b64 s[4:5], s[52:53]
	s_cbranch_execnz .LBB7_224
.LBB7_182:
	s_or_b64 exec, exec, s[4:5]
	s_and_saveexec_b64 s[4:5], s[54:55]
	s_cbranch_execnz .LBB7_225
.LBB7_183:
	s_or_b64 exec, exec, s[4:5]
	s_and_saveexec_b64 s[4:5], s[56:57]
	s_cbranch_execnz .LBB7_226
.LBB7_184:
	s_or_b64 exec, exec, s[4:5]
	s_and_saveexec_b64 s[4:5], s[58:59]
	s_cbranch_execnz .LBB7_227
.LBB7_185:
	s_or_b64 exec, exec, s[4:5]
	s_and_saveexec_b64 s[4:5], s[60:61]
	s_cbranch_execnz .LBB7_228
.LBB7_186:
	s_or_b64 exec, exec, s[4:5]
	s_and_saveexec_b64 s[4:5], s[62:63]
	s_cbranch_execnz .LBB7_229
.LBB7_187:
	s_or_b64 exec, exec, s[4:5]
	s_and_saveexec_b64 s[4:5], s[64:65]
	s_cbranch_execnz .LBB7_230
.LBB7_188:
	s_or_b64 exec, exec, s[4:5]
	s_and_saveexec_b64 s[4:5], s[66:67]
	s_cbranch_execnz .LBB7_231
.LBB7_189:
	s_or_b64 exec, exec, s[4:5]
	s_and_saveexec_b64 s[4:5], s[68:69]
	s_cbranch_execnz .LBB7_232
.LBB7_190:
	s_or_b64 exec, exec, s[4:5]
	s_and_saveexec_b64 s[4:5], s[70:71]
	s_cbranch_execnz .LBB7_233
.LBB7_191:
	s_or_b64 exec, exec, s[4:5]
	s_and_saveexec_b64 s[4:5], s[72:73]
	s_cbranch_execnz .LBB7_234
.LBB7_192:
	s_or_b64 exec, exec, s[4:5]
	s_and_saveexec_b64 s[4:5], s[74:75]
	s_cbranch_execnz .LBB7_235
.LBB7_193:
	s_or_b64 exec, exec, s[4:5]
	s_and_saveexec_b64 s[4:5], s[76:77]
	s_cbranch_execnz .LBB7_236
.LBB7_194:
	s_or_b64 exec, exec, s[4:5]
	s_and_saveexec_b64 s[4:5], s[78:79]
	s_cbranch_execnz .LBB7_237
.LBB7_195:
	s_or_b64 exec, exec, s[4:5]
	s_and_saveexec_b64 s[4:5], s[80:81]
	s_cbranch_execnz .LBB7_238
.LBB7_196:
	s_or_b64 exec, exec, s[4:5]
	s_and_saveexec_b64 s[4:5], s[82:83]
	s_cbranch_execnz .LBB7_239
.LBB7_197:
	s_or_b64 exec, exec, s[4:5]
	s_and_saveexec_b64 s[4:5], s[84:85]
	s_cbranch_execnz .LBB7_240
.LBB7_198:
	s_or_b64 exec, exec, s[4:5]
	s_and_saveexec_b64 s[4:5], s[86:87]
	s_cbranch_execnz .LBB7_241
.LBB7_199:
	s_or_b64 exec, exec, s[4:5]
	s_and_saveexec_b64 s[4:5], s[88:89]
	s_cbranch_execnz .LBB7_242
.LBB7_200:
	s_or_b64 exec, exec, s[4:5]
	s_and_saveexec_b64 s[4:5], s[90:91]
	s_cbranch_execnz .LBB7_243
.LBB7_201:
	s_or_b64 exec, exec, s[4:5]
	s_and_saveexec_b64 s[4:5], s[92:93]
	s_cbranch_execnz .LBB7_244
.LBB7_202:
	s_or_b64 exec, exec, s[4:5]
	s_and_saveexec_b64 s[4:5], s[94:95]
	s_cbranch_execnz .LBB7_245
.LBB7_203:
	s_or_b64 exec, exec, s[4:5]
	s_and_saveexec_b64 s[4:5], s[0:1]
	s_cbranch_execnz .LBB7_246
.LBB7_204:
	s_or_b64 exec, exec, s[4:5]
	s_and_saveexec_b64 s[0:1], s[2:3]
	s_cbranch_execnz .LBB7_247
.LBB7_205:
	s_or_b64 exec, exec, s[0:1]
	s_and_saveexec_b64 s[0:1], s[34:35]
	s_cbranch_execnz .LBB7_248
.LBB7_206:
	s_or_b64 exec, exec, s[0:1]
	s_and_saveexec_b64 s[0:1], s[6:7]
	s_cbranch_execnz .LBB7_249
.LBB7_207:
	s_or_b64 exec, exec, s[0:1]
	s_and_saveexec_b64 s[0:1], s[8:9]
	s_cbranch_execnz .LBB7_250
.LBB7_208:
	s_or_b64 exec, exec, s[0:1]
	s_and_saveexec_b64 s[0:1], s[10:11]
	s_cbranch_execnz .LBB7_251
.LBB7_209:
	s_or_b64 exec, exec, s[0:1]
	s_and_saveexec_b64 s[0:1], s[12:13]
	s_cbranch_execnz .LBB7_252
.LBB7_210:
	s_or_b64 exec, exec, s[0:1]
	s_and_saveexec_b64 s[0:1], s[14:15]
	s_cbranch_execnz .LBB7_253
.LBB7_211:
	s_or_b64 exec, exec, s[0:1]
	s_and_saveexec_b64 s[0:1], s[16:17]
	s_cbranch_execnz .LBB7_254
.LBB7_212:
	s_or_b64 exec, exec, s[0:1]
	s_and_saveexec_b64 s[0:1], s[18:19]
	s_cbranch_execnz .LBB7_255
.LBB7_213:
	s_or_b64 exec, exec, s[0:1]
	s_and_saveexec_b64 s[0:1], s[20:21]
	s_cbranch_execnz .LBB7_256
.LBB7_214:
	s_or_b64 exec, exec, s[0:1]
	s_and_saveexec_b64 s[0:1], s[22:23]
	s_cbranch_execnz .LBB7_257
.LBB7_215:
	s_or_b64 exec, exec, s[0:1]
	s_and_saveexec_b64 s[0:1], s[24:25]
	s_cbranch_execnz .LBB7_258
.LBB7_216:
	s_or_b64 exec, exec, s[0:1]
	s_and_saveexec_b64 s[0:1], s[26:27]
	s_cbranch_execnz .LBB7_259
.LBB7_217:
	s_or_b64 exec, exec, s[0:1]
	s_and_saveexec_b64 s[0:1], s[28:29]
	s_cbranch_execnz .LBB7_260
.LBB7_218:
	s_or_b64 exec, exec, s[0:1]
	s_and_b64 exec, exec, s[30:31]
	s_cbranch_execz .LBB7_220
.LBB7_219:
	v_add_co_u32_e32 v0, vcc, 0xf000, v0
	v_addc_co_u32_e32 v1, vcc, 0, v1, vcc
	global_store_dword v[0:1], v4, off offset:3072
.LBB7_220:
	s_endpgm
.LBB7_221:
	v_add_co_u32_e32 v2, vcc, 0x5000, v0
	v_addc_co_u32_e32 v3, vcc, 0, v1, vcc
	global_store_dword v[2:3], v69, off offset:3072
	s_or_b64 exec, exec, s[4:5]
	s_and_saveexec_b64 s[4:5], s[48:49]
	s_cbranch_execz .LBB7_180
.LBB7_222:
	buffer_load_dword v2, off, s[96:99], 0 offset:336 ; 4-byte Folded Reload
	buffer_load_dword v3, off, s[96:99], 0 offset:340 ; 4-byte Folded Reload
	v_mov_b32_e32 v6, s37
	s_waitcnt vmcnt(0)
	v_lshlrev_b64 v[2:3], 2, v[2:3]
	v_add_co_u32_e32 v2, vcc, s36, v2
	v_addc_co_u32_e32 v3, vcc, v6, v3, vcc
	global_store_dword v[2:3], v68, off
	s_or_b64 exec, exec, s[4:5]
	s_and_saveexec_b64 s[4:5], s[50:51]
	s_cbranch_execz .LBB7_181
.LBB7_223:
	v_add_co_u32_e32 v2, vcc, 0x6000, v0
	v_addc_co_u32_e32 v3, vcc, 0, v1, vcc
	global_store_dword v[2:3], v65, off offset:1024
	s_or_b64 exec, exec, s[4:5]
	s_and_saveexec_b64 s[4:5], s[52:53]
	s_cbranch_execz .LBB7_182
.LBB7_224:
	v_add_co_u32_e32 v2, vcc, 0x6000, v0
	v_addc_co_u32_e32 v3, vcc, 0, v1, vcc
	global_store_dword v[2:3], v64, off offset:2048
	s_or_b64 exec, exec, s[4:5]
	s_and_saveexec_b64 s[4:5], s[54:55]
	s_cbranch_execz .LBB7_183
.LBB7_225:
	v_add_co_u32_e32 v2, vcc, 0x6000, v0
	v_addc_co_u32_e32 v3, vcc, 0, v1, vcc
	global_store_dword v[2:3], v63, off offset:3072
	s_or_b64 exec, exec, s[4:5]
	s_and_saveexec_b64 s[4:5], s[56:57]
	s_cbranch_execz .LBB7_184
.LBB7_226:
	buffer_load_dword v2, off, s[96:99], 0 offset:344 ; 4-byte Folded Reload
	buffer_load_dword v3, off, s[96:99], 0 offset:348 ; 4-byte Folded Reload
	v_mov_b32_e32 v6, s37
	s_waitcnt vmcnt(0)
	v_lshlrev_b64 v[2:3], 2, v[2:3]
	v_add_co_u32_e32 v2, vcc, s36, v2
	v_addc_co_u32_e32 v3, vcc, v6, v3, vcc
	global_store_dword v[2:3], v62, off
	s_or_b64 exec, exec, s[4:5]
	s_and_saveexec_b64 s[4:5], s[58:59]
	s_cbranch_execz .LBB7_185
.LBB7_227:
	v_add_co_u32_e32 v2, vcc, 0x7000, v0
	v_addc_co_u32_e32 v3, vcc, 0, v1, vcc
	global_store_dword v[2:3], v59, off offset:1024
	s_or_b64 exec, exec, s[4:5]
	s_and_saveexec_b64 s[4:5], s[60:61]
	s_cbranch_execz .LBB7_186
.LBB7_228:
	v_add_co_u32_e32 v2, vcc, 0x7000, v0
	v_addc_co_u32_e32 v3, vcc, 0, v1, vcc
	global_store_dword v[2:3], v58, off offset:2048
	s_or_b64 exec, exec, s[4:5]
	s_and_saveexec_b64 s[4:5], s[62:63]
	s_cbranch_execz .LBB7_187
.LBB7_229:
	v_add_co_u32_e32 v2, vcc, 0x7000, v0
	v_addc_co_u32_e32 v3, vcc, 0, v1, vcc
	global_store_dword v[2:3], v57, off offset:3072
	s_or_b64 exec, exec, s[4:5]
	s_and_saveexec_b64 s[4:5], s[64:65]
	s_cbranch_execz .LBB7_188
.LBB7_230:
	buffer_load_dword v2, off, s[96:99], 0 offset:352 ; 4-byte Folded Reload
	buffer_load_dword v3, off, s[96:99], 0 offset:356 ; 4-byte Folded Reload
	v_mov_b32_e32 v6, s37
	s_waitcnt vmcnt(0)
	v_lshlrev_b64 v[2:3], 2, v[2:3]
	v_add_co_u32_e32 v2, vcc, s36, v2
	v_addc_co_u32_e32 v3, vcc, v6, v3, vcc
	global_store_dword v[2:3], v56, off
	s_or_b64 exec, exec, s[4:5]
	s_and_saveexec_b64 s[4:5], s[66:67]
	s_cbranch_execz .LBB7_189
.LBB7_231:
	v_add_co_u32_e32 v2, vcc, 0x8000, v0
	v_addc_co_u32_e32 v3, vcc, 0, v1, vcc
	global_store_dword v[2:3], v53, off offset:1024
	s_or_b64 exec, exec, s[4:5]
	s_and_saveexec_b64 s[4:5], s[68:69]
	s_cbranch_execz .LBB7_190
.LBB7_232:
	v_add_co_u32_e32 v2, vcc, 0x8000, v0
	v_addc_co_u32_e32 v3, vcc, 0, v1, vcc
	global_store_dword v[2:3], v52, off offset:2048
	s_or_b64 exec, exec, s[4:5]
	s_and_saveexec_b64 s[4:5], s[70:71]
	s_cbranch_execz .LBB7_191
.LBB7_233:
	v_add_co_u32_e32 v2, vcc, 0x8000, v0
	v_addc_co_u32_e32 v3, vcc, 0, v1, vcc
	global_store_dword v[2:3], v49, off offset:3072
	s_or_b64 exec, exec, s[4:5]
	s_and_saveexec_b64 s[4:5], s[72:73]
	s_cbranch_execz .LBB7_192
.LBB7_234:
	buffer_load_dword v2, off, s[96:99], 0 offset:360 ; 4-byte Folded Reload
	buffer_load_dword v3, off, s[96:99], 0 offset:364 ; 4-byte Folded Reload
	v_mov_b32_e32 v6, s37
	s_waitcnt vmcnt(0)
	v_lshlrev_b64 v[2:3], 2, v[2:3]
	v_add_co_u32_e32 v2, vcc, s36, v2
	v_addc_co_u32_e32 v3, vcc, v6, v3, vcc
	global_store_dword v[2:3], v48, off
	s_or_b64 exec, exec, s[4:5]
	s_and_saveexec_b64 s[4:5], s[74:75]
	s_cbranch_execz .LBB7_193
.LBB7_235:
	v_add_co_u32_e32 v2, vcc, 0x9000, v0
	v_addc_co_u32_e32 v3, vcc, 0, v1, vcc
	global_store_dword v[2:3], v47, off offset:1024
	s_or_b64 exec, exec, s[4:5]
	s_and_saveexec_b64 s[4:5], s[76:77]
	s_cbranch_execz .LBB7_194
.LBB7_236:
	v_add_co_u32_e32 v2, vcc, 0x9000, v0
	v_addc_co_u32_e32 v3, vcc, 0, v1, vcc
	global_store_dword v[2:3], v46, off offset:2048
	s_or_b64 exec, exec, s[4:5]
	s_and_saveexec_b64 s[4:5], s[78:79]
	s_cbranch_execz .LBB7_195
.LBB7_237:
	v_add_co_u32_e32 v2, vcc, 0x9000, v0
	v_addc_co_u32_e32 v3, vcc, 0, v1, vcc
	global_store_dword v[2:3], v43, off offset:3072
	s_or_b64 exec, exec, s[4:5]
	s_and_saveexec_b64 s[4:5], s[80:81]
	s_cbranch_execz .LBB7_196
.LBB7_238:
	buffer_load_dword v2, off, s[96:99], 0 offset:368 ; 4-byte Folded Reload
	buffer_load_dword v3, off, s[96:99], 0 offset:372 ; 4-byte Folded Reload
	v_mov_b32_e32 v6, s37
	s_waitcnt vmcnt(0)
	v_lshlrev_b64 v[2:3], 2, v[2:3]
	v_add_co_u32_e32 v2, vcc, s36, v2
	v_addc_co_u32_e32 v3, vcc, v6, v3, vcc
	global_store_dword v[2:3], v42, off
	s_or_b64 exec, exec, s[4:5]
	s_and_saveexec_b64 s[4:5], s[82:83]
	s_cbranch_execz .LBB7_197
.LBB7_239:
	v_add_co_u32_e32 v2, vcc, 0xa000, v0
	v_addc_co_u32_e32 v3, vcc, 0, v1, vcc
	global_store_dword v[2:3], v39, off offset:1024
	s_or_b64 exec, exec, s[4:5]
	s_and_saveexec_b64 s[4:5], s[84:85]
	s_cbranch_execz .LBB7_198
.LBB7_240:
	v_add_co_u32_e32 v2, vcc, 0xa000, v0
	v_addc_co_u32_e32 v3, vcc, 0, v1, vcc
	global_store_dword v[2:3], v38, off offset:2048
	s_or_b64 exec, exec, s[4:5]
	s_and_saveexec_b64 s[4:5], s[86:87]
	s_cbranch_execz .LBB7_199
.LBB7_241:
	v_add_co_u32_e32 v2, vcc, 0xa000, v0
	v_addc_co_u32_e32 v3, vcc, 0, v1, vcc
	global_store_dword v[2:3], v37, off offset:3072
	s_or_b64 exec, exec, s[4:5]
	s_and_saveexec_b64 s[4:5], s[88:89]
	s_cbranch_execz .LBB7_200
.LBB7_242:
	buffer_load_dword v2, off, s[96:99], 0 offset:376 ; 4-byte Folded Reload
	buffer_load_dword v3, off, s[96:99], 0 offset:380 ; 4-byte Folded Reload
	v_mov_b32_e32 v6, s37
	s_waitcnt vmcnt(0)
	v_lshlrev_b64 v[2:3], 2, v[2:3]
	v_add_co_u32_e32 v2, vcc, s36, v2
	v_addc_co_u32_e32 v3, vcc, v6, v3, vcc
	global_store_dword v[2:3], v36, off
	s_or_b64 exec, exec, s[4:5]
	s_and_saveexec_b64 s[4:5], s[90:91]
	s_cbranch_execz .LBB7_201
.LBB7_243:
	v_add_co_u32_e32 v2, vcc, 0xb000, v0
	v_addc_co_u32_e32 v3, vcc, 0, v1, vcc
	global_store_dword v[2:3], v33, off offset:1024
	s_or_b64 exec, exec, s[4:5]
	s_and_saveexec_b64 s[4:5], s[92:93]
	s_cbranch_execz .LBB7_202
.LBB7_244:
	v_add_co_u32_e32 v2, vcc, 0xb000, v0
	v_addc_co_u32_e32 v3, vcc, 0, v1, vcc
	global_store_dword v[2:3], v32, off offset:2048
	s_or_b64 exec, exec, s[4:5]
	s_and_saveexec_b64 s[4:5], s[94:95]
	s_cbranch_execz .LBB7_203
.LBB7_245:
	v_add_co_u32_e32 v2, vcc, 0xb000, v0
	v_addc_co_u32_e32 v3, vcc, 0, v1, vcc
	global_store_dword v[2:3], v29, off offset:3072
	s_or_b64 exec, exec, s[4:5]
	s_and_saveexec_b64 s[4:5], s[0:1]
	s_cbranch_execz .LBB7_204
.LBB7_246:
	buffer_load_dword v2, off, s[96:99], 0 offset:384 ; 4-byte Folded Reload
	buffer_load_dword v3, off, s[96:99], 0 offset:388 ; 4-byte Folded Reload
	v_mov_b32_e32 v6, s37
	s_waitcnt vmcnt(0)
	v_lshlrev_b64 v[2:3], 2, v[2:3]
	v_add_co_u32_e32 v2, vcc, s36, v2
	v_addc_co_u32_e32 v3, vcc, v6, v3, vcc
	global_store_dword v[2:3], v28, off
	s_or_b64 exec, exec, s[4:5]
	s_and_saveexec_b64 s[0:1], s[2:3]
	s_cbranch_execz .LBB7_205
.LBB7_247:
	v_add_co_u32_e32 v2, vcc, 0xc000, v0
	v_addc_co_u32_e32 v3, vcc, 0, v1, vcc
	global_store_dword v[2:3], v27, off offset:1024
	s_or_b64 exec, exec, s[0:1]
	s_and_saveexec_b64 s[0:1], s[34:35]
	s_cbranch_execz .LBB7_206
.LBB7_248:
	v_add_co_u32_e32 v2, vcc, 0xc000, v0
	v_addc_co_u32_e32 v3, vcc, 0, v1, vcc
	global_store_dword v[2:3], v26, off offset:2048
	s_or_b64 exec, exec, s[0:1]
	s_and_saveexec_b64 s[0:1], s[6:7]
	s_cbranch_execz .LBB7_207
.LBB7_249:
	v_add_co_u32_e32 v2, vcc, 0xc000, v0
	v_addc_co_u32_e32 v3, vcc, 0, v1, vcc
	global_store_dword v[2:3], v23, off offset:3072
	s_or_b64 exec, exec, s[0:1]
	s_and_saveexec_b64 s[0:1], s[8:9]
	s_cbranch_execz .LBB7_208
.LBB7_250:
	buffer_load_dword v2, off, s[96:99], 0 offset:392 ; 4-byte Folded Reload
	buffer_load_dword v3, off, s[96:99], 0 offset:396 ; 4-byte Folded Reload
	v_mov_b32_e32 v6, s37
	s_waitcnt vmcnt(0)
	v_lshlrev_b64 v[2:3], 2, v[2:3]
	v_add_co_u32_e32 v2, vcc, s36, v2
	v_addc_co_u32_e32 v3, vcc, v6, v3, vcc
	global_store_dword v[2:3], v22, off
	s_or_b64 exec, exec, s[0:1]
	s_and_saveexec_b64 s[0:1], s[10:11]
	s_cbranch_execz .LBB7_209
.LBB7_251:
	v_add_co_u32_e32 v2, vcc, 0xd000, v0
	v_addc_co_u32_e32 v3, vcc, 0, v1, vcc
	global_store_dword v[2:3], v19, off offset:1024
	s_or_b64 exec, exec, s[0:1]
	s_and_saveexec_b64 s[0:1], s[12:13]
	s_cbranch_execz .LBB7_210
.LBB7_252:
	v_add_co_u32_e32 v2, vcc, 0xd000, v0
	v_addc_co_u32_e32 v3, vcc, 0, v1, vcc
	global_store_dword v[2:3], v18, off offset:2048
	s_or_b64 exec, exec, s[0:1]
	s_and_saveexec_b64 s[0:1], s[14:15]
	s_cbranch_execz .LBB7_211
.LBB7_253:
	v_add_co_u32_e32 v2, vcc, 0xd000, v0
	v_addc_co_u32_e32 v3, vcc, 0, v1, vcc
	global_store_dword v[2:3], v15, off offset:3072
	s_or_b64 exec, exec, s[0:1]
	s_and_saveexec_b64 s[0:1], s[16:17]
	s_cbranch_execz .LBB7_212
.LBB7_254:
	buffer_load_dword v2, off, s[96:99], 0 offset:400 ; 4-byte Folded Reload
	buffer_load_dword v3, off, s[96:99], 0 offset:404 ; 4-byte Folded Reload
	v_mov_b32_e32 v6, s37
	s_waitcnt vmcnt(0)
	v_lshlrev_b64 v[2:3], 2, v[2:3]
	v_add_co_u32_e32 v2, vcc, s36, v2
	v_addc_co_u32_e32 v3, vcc, v6, v3, vcc
	global_store_dword v[2:3], v14, off
	s_or_b64 exec, exec, s[0:1]
	s_and_saveexec_b64 s[0:1], s[18:19]
	s_cbranch_execz .LBB7_213
.LBB7_255:
	v_add_co_u32_e32 v2, vcc, 0xe000, v0
	v_addc_co_u32_e32 v3, vcc, 0, v1, vcc
	global_store_dword v[2:3], v11, off offset:1024
	s_or_b64 exec, exec, s[0:1]
	s_and_saveexec_b64 s[0:1], s[20:21]
	s_cbranch_execz .LBB7_214
.LBB7_256:
	v_add_co_u32_e32 v2, vcc, 0xe000, v0
	v_addc_co_u32_e32 v3, vcc, 0, v1, vcc
	global_store_dword v[2:3], v10, off offset:2048
	s_or_b64 exec, exec, s[0:1]
	s_and_saveexec_b64 s[0:1], s[22:23]
	s_cbranch_execz .LBB7_215
.LBB7_257:
	v_add_co_u32_e32 v2, vcc, 0xe000, v0
	v_addc_co_u32_e32 v3, vcc, 0, v1, vcc
	global_store_dword v[2:3], v9, off offset:3072
	s_or_b64 exec, exec, s[0:1]
	s_and_saveexec_b64 s[0:1], s[24:25]
	s_cbranch_execz .LBB7_216
.LBB7_258:
	buffer_load_dword v2, off, s[96:99], 0 offset:408 ; 4-byte Folded Reload
	buffer_load_dword v3, off, s[96:99], 0 offset:412 ; 4-byte Folded Reload
	v_mov_b32_e32 v6, s37
	s_waitcnt vmcnt(0)
	v_lshlrev_b64 v[2:3], 2, v[2:3]
	v_add_co_u32_e32 v2, vcc, s36, v2
	v_addc_co_u32_e32 v3, vcc, v6, v3, vcc
	global_store_dword v[2:3], v8, off
	s_or_b64 exec, exec, s[0:1]
	s_and_saveexec_b64 s[0:1], s[26:27]
	s_cbranch_execz .LBB7_217
.LBB7_259:
	v_add_co_u32_e32 v2, vcc, 0xf000, v0
	v_addc_co_u32_e32 v3, vcc, 0, v1, vcc
	global_store_dword v[2:3], v126, off offset:1024
	s_or_b64 exec, exec, s[0:1]
	s_and_saveexec_b64 s[0:1], s[28:29]
	s_cbranch_execz .LBB7_218
.LBB7_260:
	v_add_co_u32_e32 v2, vcc, 0xf000, v0
	v_addc_co_u32_e32 v3, vcc, 0, v1, vcc
	global_store_dword v[2:3], v5, off offset:2048
	s_or_b64 exec, exec, s[0:1]
	s_and_b64 exec, exec, s[30:31]
	s_cbranch_execnz .LBB7_219
	s_branch .LBB7_220
	.section	.rodata,"a",@progbits
	.p2align	6, 0x0
	.amdhsa_kernel _Z10pnpoly_optILi64EEvPiPK15HIP_vector_typeIfLj2EES4_i
		.amdhsa_group_segment_fixed_size 0
		.amdhsa_private_segment_fixed_size 420
		.amdhsa_kernarg_size 28
		.amdhsa_user_sgpr_count 6
		.amdhsa_user_sgpr_private_segment_buffer 1
		.amdhsa_user_sgpr_dispatch_ptr 0
		.amdhsa_user_sgpr_queue_ptr 0
		.amdhsa_user_sgpr_kernarg_segment_ptr 1
		.amdhsa_user_sgpr_dispatch_id 0
		.amdhsa_user_sgpr_flat_scratch_init 0
		.amdhsa_user_sgpr_kernarg_preload_length 0
		.amdhsa_user_sgpr_kernarg_preload_offset 0
		.amdhsa_user_sgpr_private_segment_size 0
		.amdhsa_uses_dynamic_stack 0
		.amdhsa_system_sgpr_private_segment_wavefront_offset 1
		.amdhsa_system_sgpr_workgroup_id_x 1
		.amdhsa_system_sgpr_workgroup_id_y 0
		.amdhsa_system_sgpr_workgroup_id_z 0
		.amdhsa_system_sgpr_workgroup_info 0
		.amdhsa_system_vgpr_workitem_id 0
		.amdhsa_next_free_vgpr 128
		.amdhsa_next_free_sgpr 100
		.amdhsa_accum_offset 128
		.amdhsa_reserve_vcc 1
		.amdhsa_reserve_flat_scratch 0
		.amdhsa_float_round_mode_32 0
		.amdhsa_float_round_mode_16_64 0
		.amdhsa_float_denorm_mode_32 3
		.amdhsa_float_denorm_mode_16_64 3
		.amdhsa_dx10_clamp 1
		.amdhsa_ieee_mode 1
		.amdhsa_fp16_overflow 0
		.amdhsa_tg_split 0
		.amdhsa_exception_fp_ieee_invalid_op 0
		.amdhsa_exception_fp_denorm_src 0
		.amdhsa_exception_fp_ieee_div_zero 0
		.amdhsa_exception_fp_ieee_overflow 0
		.amdhsa_exception_fp_ieee_underflow 0
		.amdhsa_exception_fp_ieee_inexact 0
		.amdhsa_exception_int_div_zero 0
	.end_amdhsa_kernel
	.section	.text._Z10pnpoly_optILi64EEvPiPK15HIP_vector_typeIfLj2EES4_i,"axG",@progbits,_Z10pnpoly_optILi64EEvPiPK15HIP_vector_typeIfLj2EES4_i,comdat
.Lfunc_end7:
	.size	_Z10pnpoly_optILi64EEvPiPK15HIP_vector_typeIfLj2EES4_i, .Lfunc_end7-_Z10pnpoly_optILi64EEvPiPK15HIP_vector_typeIfLj2EES4_i
                                        ; -- End function
	.section	.AMDGPU.csdata,"",@progbits
; Kernel info:
; codeLenInByte = 14520
; NumSgprs: 104
; NumVgprs: 128
; NumAgprs: 0
; TotalNumVgprs: 128
; ScratchSize: 420
; MemoryBound: 0
; FloatMode: 240
; IeeeMode: 1
; LDSByteSize: 0 bytes/workgroup (compile time only)
; SGPRBlocks: 12
; VGPRBlocks: 15
; NumSGPRsForWavesPerEU: 104
; NumVGPRsForWavesPerEU: 128
; AccumOffset: 128
; Occupancy: 4
; WaveLimiterHint : 0
; COMPUTE_PGM_RSRC2:SCRATCH_EN: 1
; COMPUTE_PGM_RSRC2:USER_SGPR: 6
; COMPUTE_PGM_RSRC2:TRAP_HANDLER: 0
; COMPUTE_PGM_RSRC2:TGID_X_EN: 1
; COMPUTE_PGM_RSRC2:TGID_Y_EN: 0
; COMPUTE_PGM_RSRC2:TGID_Z_EN: 0
; COMPUTE_PGM_RSRC2:TIDIG_COMP_CNT: 0
; COMPUTE_PGM_RSRC3_GFX90A:ACCUM_OFFSET: 31
; COMPUTE_PGM_RSRC3_GFX90A:TG_SPLIT: 0
	.text
	.p2alignl 6, 3212836864
	.fill 256, 4, 3212836864
	.type	__hip_cuid_234725d486d5b075,@object ; @__hip_cuid_234725d486d5b075
	.section	.bss,"aw",@nobits
	.globl	__hip_cuid_234725d486d5b075
__hip_cuid_234725d486d5b075:
	.byte	0                               ; 0x0
	.size	__hip_cuid_234725d486d5b075, 1

	.ident	"AMD clang version 19.0.0git (https://github.com/RadeonOpenCompute/llvm-project roc-6.4.0 25133 c7fe45cf4b819c5991fe208aaa96edf142730f1d)"
	.section	".note.GNU-stack","",@progbits
	.addrsig
	.addrsig_sym __hip_cuid_234725d486d5b075
	.amdgpu_metadata
---
amdhsa.kernels:
  - .agpr_count:     0
    .args:
      - .actual_access:  write_only
        .address_space:  global
        .offset:         0
        .size:           8
        .value_kind:     global_buffer
      - .actual_access:  read_only
        .address_space:  global
        .offset:         8
        .size:           8
        .value_kind:     global_buffer
      - .actual_access:  read_only
        .address_space:  global
        .offset:         16
        .size:           8
        .value_kind:     global_buffer
      - .offset:         24
        .size:           4
        .value_kind:     by_value
      - .offset:         32
        .size:           4
        .value_kind:     hidden_block_count_x
      - .offset:         36
        .size:           4
        .value_kind:     hidden_block_count_y
      - .offset:         40
        .size:           4
        .value_kind:     hidden_block_count_z
      - .offset:         44
        .size:           2
        .value_kind:     hidden_group_size_x
      - .offset:         46
        .size:           2
        .value_kind:     hidden_group_size_y
      - .offset:         48
        .size:           2
        .value_kind:     hidden_group_size_z
      - .offset:         50
        .size:           2
        .value_kind:     hidden_remainder_x
      - .offset:         52
        .size:           2
        .value_kind:     hidden_remainder_y
      - .offset:         54
        .size:           2
        .value_kind:     hidden_remainder_z
      - .offset:         72
        .size:           8
        .value_kind:     hidden_global_offset_x
      - .offset:         80
        .size:           8
        .value_kind:     hidden_global_offset_y
      - .offset:         88
        .size:           8
        .value_kind:     hidden_global_offset_z
      - .offset:         96
        .size:           2
        .value_kind:     hidden_grid_dims
    .group_segment_fixed_size: 0
    .kernarg_segment_align: 8
    .kernarg_segment_size: 288
    .language:       OpenCL C
    .language_version:
      - 2
      - 0
    .max_flat_workgroup_size: 1024
    .name:           _Z11pnpoly_basePiPK15HIP_vector_typeIfLj2EES3_i
    .private_segment_fixed_size: 0
    .sgpr_count:     22
    .sgpr_spill_count: 0
    .symbol:         _Z11pnpoly_basePiPK15HIP_vector_typeIfLj2EES3_i.kd
    .uniform_work_group_size: 1
    .uses_dynamic_stack: false
    .vgpr_count:     14
    .vgpr_spill_count: 0
    .wavefront_size: 64
  - .agpr_count:     0
    .args:
      - .actual_access:  write_only
        .address_space:  global
        .offset:         0
        .size:           8
        .value_kind:     global_buffer
      - .actual_access:  read_only
        .address_space:  global
        .offset:         8
        .size:           8
        .value_kind:     global_buffer
      - .actual_access:  read_only
        .address_space:  global
        .offset:         16
        .size:           8
        .value_kind:     global_buffer
      - .offset:         24
        .size:           4
        .value_kind:     by_value
    .group_segment_fixed_size: 0
    .kernarg_segment_align: 8
    .kernarg_segment_size: 28
    .language:       OpenCL C
    .language_version:
      - 2
      - 0
    .max_flat_workgroup_size: 1024
    .name:           _Z10pnpoly_optILi1EEvPiPK15HIP_vector_typeIfLj2EES4_i
    .private_segment_fixed_size: 0
    .sgpr_count:     22
    .sgpr_spill_count: 0
    .symbol:         _Z10pnpoly_optILi1EEvPiPK15HIP_vector_typeIfLj2EES4_i.kd
    .uniform_work_group_size: 1
    .uses_dynamic_stack: false
    .vgpr_count:     14
    .vgpr_spill_count: 0
    .wavefront_size: 64
  - .agpr_count:     0
    .args:
      - .actual_access:  write_only
        .address_space:  global
        .offset:         0
        .size:           8
        .value_kind:     global_buffer
      - .actual_access:  read_only
        .address_space:  global
        .offset:         8
        .size:           8
        .value_kind:     global_buffer
      - .actual_access:  read_only
        .address_space:  global
        .offset:         16
        .size:           8
        .value_kind:     global_buffer
      - .offset:         24
        .size:           4
        .value_kind:     by_value
    .group_segment_fixed_size: 0
    .kernarg_segment_align: 8
    .kernarg_segment_size: 28
    .language:       OpenCL C
    .language_version:
      - 2
      - 0
    .max_flat_workgroup_size: 1024
    .name:           _Z10pnpoly_optILi2EEvPiPK15HIP_vector_typeIfLj2EES4_i
    .private_segment_fixed_size: 0
    .sgpr_count:     22
    .sgpr_spill_count: 0
    .symbol:         _Z10pnpoly_optILi2EEvPiPK15HIP_vector_typeIfLj2EES4_i.kd
    .uniform_work_group_size: 1
    .uses_dynamic_stack: false
    .vgpr_count:     15
    .vgpr_spill_count: 0
    .wavefront_size: 64
  - .agpr_count:     0
    .args:
      - .actual_access:  write_only
        .address_space:  global
        .offset:         0
        .size:           8
        .value_kind:     global_buffer
      - .actual_access:  read_only
        .address_space:  global
        .offset:         8
        .size:           8
        .value_kind:     global_buffer
      - .actual_access:  read_only
        .address_space:  global
        .offset:         16
        .size:           8
        .value_kind:     global_buffer
      - .offset:         24
        .size:           4
        .value_kind:     by_value
    .group_segment_fixed_size: 0
    .kernarg_segment_align: 8
    .kernarg_segment_size: 28
    .language:       OpenCL C
    .language_version:
      - 2
      - 0
    .max_flat_workgroup_size: 1024
    .name:           _Z10pnpoly_optILi4EEvPiPK15HIP_vector_typeIfLj2EES4_i
    .private_segment_fixed_size: 0
    .sgpr_count:     28
    .sgpr_spill_count: 0
    .symbol:         _Z10pnpoly_optILi4EEvPiPK15HIP_vector_typeIfLj2EES4_i.kd
    .uniform_work_group_size: 1
    .uses_dynamic_stack: false
    .vgpr_count:     21
    .vgpr_spill_count: 0
    .wavefront_size: 64
  - .agpr_count:     0
    .args:
      - .actual_access:  write_only
        .address_space:  global
        .offset:         0
        .size:           8
        .value_kind:     global_buffer
      - .actual_access:  read_only
        .address_space:  global
        .offset:         8
        .size:           8
        .value_kind:     global_buffer
      - .actual_access:  read_only
        .address_space:  global
        .offset:         16
        .size:           8
        .value_kind:     global_buffer
      - .offset:         24
        .size:           4
        .value_kind:     by_value
    .group_segment_fixed_size: 0
    .kernarg_segment_align: 8
    .kernarg_segment_size: 28
    .language:       OpenCL C
    .language_version:
      - 2
      - 0
    .max_flat_workgroup_size: 1024
    .name:           _Z10pnpoly_optILi8EEvPiPK15HIP_vector_typeIfLj2EES4_i
    .private_segment_fixed_size: 0
    .sgpr_count:     48
    .sgpr_spill_count: 0
    .symbol:         _Z10pnpoly_optILi8EEvPiPK15HIP_vector_typeIfLj2EES4_i.kd
    .uniform_work_group_size: 1
    .uses_dynamic_stack: false
    .vgpr_count:     35
    .vgpr_spill_count: 0
    .wavefront_size: 64
  - .agpr_count:     0
    .args:
      - .actual_access:  write_only
        .address_space:  global
        .offset:         0
        .size:           8
        .value_kind:     global_buffer
      - .actual_access:  read_only
        .address_space:  global
        .offset:         8
        .size:           8
        .value_kind:     global_buffer
      - .actual_access:  read_only
        .address_space:  global
        .offset:         16
        .size:           8
        .value_kind:     global_buffer
      - .offset:         24
        .size:           4
        .value_kind:     by_value
    .group_segment_fixed_size: 0
    .kernarg_segment_align: 8
    .kernarg_segment_size: 28
    .language:       OpenCL C
    .language_version:
      - 2
      - 0
    .max_flat_workgroup_size: 1024
    .name:           _Z10pnpoly_optILi16EEvPiPK15HIP_vector_typeIfLj2EES4_i
    .private_segment_fixed_size: 0
    .sgpr_count:     62
    .sgpr_spill_count: 0
    .symbol:         _Z10pnpoly_optILi16EEvPiPK15HIP_vector_typeIfLj2EES4_i.kd
    .uniform_work_group_size: 1
    .uses_dynamic_stack: false
    .vgpr_count:     63
    .vgpr_spill_count: 0
    .wavefront_size: 64
  - .agpr_count:     0
    .args:
      - .actual_access:  write_only
        .address_space:  global
        .offset:         0
        .size:           8
        .value_kind:     global_buffer
      - .actual_access:  read_only
        .address_space:  global
        .offset:         8
        .size:           8
        .value_kind:     global_buffer
      - .actual_access:  read_only
        .address_space:  global
        .offset:         16
        .size:           8
        .value_kind:     global_buffer
      - .offset:         24
        .size:           4
        .value_kind:     by_value
    .group_segment_fixed_size: 0
    .kernarg_segment_align: 8
    .kernarg_segment_size: 28
    .language:       OpenCL C
    .language_version:
      - 2
      - 0
    .max_flat_workgroup_size: 1024
    .name:           _Z10pnpoly_optILi32EEvPiPK15HIP_vector_typeIfLj2EES4_i
    .private_segment_fixed_size: 0
    .sgpr_count:     82
    .sgpr_spill_count: 0
    .symbol:         _Z10pnpoly_optILi32EEvPiPK15HIP_vector_typeIfLj2EES4_i.kd
    .uniform_work_group_size: 1
    .uses_dynamic_stack: false
    .vgpr_count:     119
    .vgpr_spill_count: 0
    .wavefront_size: 64
  - .agpr_count:     0
    .args:
      - .actual_access:  write_only
        .address_space:  global
        .offset:         0
        .size:           8
        .value_kind:     global_buffer
      - .actual_access:  read_only
        .address_space:  global
        .offset:         8
        .size:           8
        .value_kind:     global_buffer
      - .actual_access:  read_only
        .address_space:  global
        .offset:         16
        .size:           8
        .value_kind:     global_buffer
      - .offset:         24
        .size:           4
        .value_kind:     by_value
    .group_segment_fixed_size: 0
    .kernarg_segment_align: 8
    .kernarg_segment_size: 28
    .language:       OpenCL C
    .language_version:
      - 2
      - 0
    .max_flat_workgroup_size: 1024
    .name:           _Z10pnpoly_optILi64EEvPiPK15HIP_vector_typeIfLj2EES4_i
    .private_segment_fixed_size: 420
    .sgpr_count:     104
    .sgpr_spill_count: 46
    .symbol:         _Z10pnpoly_optILi64EEvPiPK15HIP_vector_typeIfLj2EES4_i.kd
    .uniform_work_group_size: 1
    .uses_dynamic_stack: false
    .vgpr_count:     128
    .vgpr_spill_count: 174
    .wavefront_size: 64
amdhsa.target:   amdgcn-amd-amdhsa--gfx90a
amdhsa.version:
  - 1
  - 2
...

	.end_amdgpu_metadata
